;; amdgpu-corpus repo=ROCm/rocFFT kind=compiled arch=gfx950 opt=O3
	.text
	.amdgcn_target "amdgcn-amd-amdhsa--gfx950"
	.amdhsa_code_object_version 6
	.protected	fft_rtc_fwd_len216_factors_2_6_9_2_wgs_144_tpt_18_dim3_sp_ip_CI_sbcc_twdbase8_3step_dirReg ; -- Begin function fft_rtc_fwd_len216_factors_2_6_9_2_wgs_144_tpt_18_dim3_sp_ip_CI_sbcc_twdbase8_3step_dirReg
	.globl	fft_rtc_fwd_len216_factors_2_6_9_2_wgs_144_tpt_18_dim3_sp_ip_CI_sbcc_twdbase8_3step_dirReg
	.p2align	8
	.type	fft_rtc_fwd_len216_factors_2_6_9_2_wgs_144_tpt_18_dim3_sp_ip_CI_sbcc_twdbase8_3step_dirReg,@function
fft_rtc_fwd_len216_factors_2_6_9_2_wgs_144_tpt_18_dim3_sp_ip_CI_sbcc_twdbase8_3step_dirReg: ; @fft_rtc_fwd_len216_factors_2_6_9_2_wgs_144_tpt_18_dim3_sp_ip_CI_sbcc_twdbase8_3step_dirReg
; %bb.0:
	s_load_dwordx4 s[4:7], s[0:1], 0x10
	s_mov_b32 s3, 0
	s_mov_b64 s[20:21], 0
	s_waitcnt lgkmcnt(0)
	s_load_dwordx2 s[16:17], s[4:5], 0x8
	s_waitcnt lgkmcnt(0)
	s_add_u32 s8, s16, -1
	s_addc_u32 s9, s17, -1
	s_lshr_b64 s[8:9], s[8:9], 3
	s_add_u32 s18, s8, 1
	s_addc_u32 s19, s9, 0
	v_mov_b64_e32 v[2:3], s[18:19]
	v_cmp_lt_u64_e32 vcc, s[2:3], v[2:3]
	s_cbranch_vccnz .LBB0_2
; %bb.1:
	v_cvt_f32_u32_e32 v1, s18
	s_sub_i32 s8, 0, s18
	s_mov_b32 s21, s3
	v_rcp_iflag_f32_e32 v1, v1
	s_nop 0
	v_mul_f32_e32 v1, 0x4f7ffffe, v1
	v_cvt_u32_f32_e32 v1, v1
	s_nop 0
	v_readfirstlane_b32 s9, v1
	s_mul_i32 s8, s8, s9
	s_mul_hi_u32 s8, s9, s8
	s_add_i32 s9, s9, s8
	s_mul_hi_u32 s8, s2, s9
	s_mul_i32 s10, s8, s18
	s_sub_i32 s10, s2, s10
	s_add_i32 s9, s8, 1
	s_sub_i32 s11, s10, s18
	s_cmp_ge_u32 s10, s18
	s_cselect_b32 s8, s9, s8
	s_cselect_b32 s10, s11, s10
	s_add_i32 s9, s8, 1
	s_cmp_ge_u32 s10, s18
	s_cselect_b32 s20, s9, s8
.LBB0_2:
	s_load_dwordx2 s[8:9], s[4:5], 0x10
	s_load_dwordx2 s[12:13], s[6:7], 0x8
	s_mov_b64 s[4:5], s[20:21]
	s_waitcnt lgkmcnt(0)
	v_mov_b64_e32 v[2:3], s[8:9]
	v_cmp_lt_u64_e32 vcc, s[20:21], v[2:3]
	s_cbranch_vccnz .LBB0_4
; %bb.3:
	v_cvt_f32_u32_e32 v1, s8
	s_sub_i32 s4, 0, s8
	v_rcp_iflag_f32_e32 v1, v1
	s_nop 0
	v_mul_f32_e32 v1, 0x4f7ffffe, v1
	v_cvt_u32_f32_e32 v1, v1
	s_nop 0
	v_readfirstlane_b32 s5, v1
	s_mul_i32 s4, s4, s5
	s_mul_hi_u32 s4, s5, s4
	s_add_i32 s5, s5, s4
	s_mul_hi_u32 s4, s20, s5
	s_mul_i32 s4, s4, s8
	s_sub_i32 s4, s20, s4
	s_sub_i32 s5, s4, s8
	s_cmp_ge_u32 s4, s8
	s_cselect_b32 s4, s5, s4
	s_sub_i32 s5, s4, s8
	s_cmp_ge_u32 s4, s8
	s_cselect_b32 s4, s5, s4
.LBB0_4:
	s_mul_i32 s5, s8, s19
	s_mul_hi_u32 s14, s8, s18
	s_add_i32 s5, s14, s5
	s_mul_i32 s9, s9, s18
	s_load_dwordx2 s[10:11], s[0:1], 0x50
	s_add_i32 s15, s5, s9
	s_mul_i32 s14, s8, s18
	s_load_dwordx2 s[8:9], s[6:7], 0x0
	s_load_dwordx2 s[22:23], s[6:7], 0x10
	v_mov_b64_e32 v[2:3], s[14:15]
	v_cmp_lt_u64_e32 vcc, s[2:3], v[2:3]
	s_mov_b64 s[24:25], 0
	s_cbranch_vccnz .LBB0_6
; %bb.5:
	v_cvt_f32_u32_e32 v1, s14
	s_sub_i32 s3, 0, s14
	v_rcp_iflag_f32_e32 v1, v1
	s_nop 0
	v_mul_f32_e32 v1, 0x4f7ffffe, v1
	v_cvt_u32_f32_e32 v1, v1
	s_nop 0
	v_readfirstlane_b32 s5, v1
	s_mul_i32 s3, s3, s5
	s_mul_hi_u32 s3, s5, s3
	s_add_i32 s5, s5, s3
	s_mul_hi_u32 s3, s2, s5
	s_mul_i32 s15, s3, s14
	s_sub_i32 s15, s2, s15
	s_add_i32 s5, s3, 1
	s_sub_i32 s21, s15, s14
	s_cmp_ge_u32 s15, s14
	s_cselect_b32 s3, s5, s3
	s_cselect_b32 s15, s21, s15
	s_add_i32 s5, s3, 1
	s_cmp_ge_u32 s15, s14
	s_cselect_b32 s24, s5, s3
.LBB0_6:
	s_mul_i32 s3, s20, s19
	s_mul_hi_u32 s5, s20, s18
	s_add_i32 s5, s5, s3
	s_mul_i32 s3, s20, s18
	s_sub_u32 s2, s2, s3
	s_subb_u32 s3, 0, s5
	v_mov_b32_e32 v1, s2
	v_alignbit_b32 v1, s3, v1, 29
	s_lshl_b64 s[18:19], s[2:3], 3
	v_readfirstlane_b32 s2, v1
	s_mul_i32 s2, s12, s2
	s_mul_hi_u32 s3, s12, s18
	s_add_i32 s2, s3, s2
	s_mul_i32 s3, s13, s18
	s_add_i32 s5, s2, s3
	s_load_dwordx2 s[2:3], s[6:7], 0x18
	s_waitcnt lgkmcnt(0)
	s_mul_i32 s21, s23, s4
	s_mul_hi_u32 s23, s22, s4
	s_mul_i32 s20, s12, s18
	s_add_i32 s23, s23, s21
	s_mul_i32 s4, s22, s4
	s_add_u32 s4, s4, s20
	s_mul_i32 s3, s3, s24
	s_mul_hi_u32 s6, s2, s24
	s_addc_u32 s5, s23, s5
	s_add_i32 s3, s6, s3
	s_mul_i32 s2, s2, s24
	s_add_u32 s6, s2, s4
	s_load_dwordx2 s[14:15], s[0:1], 0x0
	s_addc_u32 s7, s3, s5
	s_add_u32 s4, s18, 8
	s_addc_u32 s5, s19, 0
	v_mov_b64_e32 v[2:3], s[16:17]
	v_and_b32_e32 v47, 7, v0
	v_cmp_gt_u64_e32 vcc, s[4:5], v[2:3]
	v_or_b32_e32 v34, s18, v47
	v_mov_b32_e32 v35, s19
	v_cmp_le_u64_e64 s[2:3], s[4:5], v[2:3]
	v_lshrrev_b32_e32 v42, 3, v0
	s_cbranch_vccz .LBB0_12
; %bb.7:
	v_cmp_le_u64_e32 vcc, s[16:17], v[34:35]
                                        ; implicit-def: $vgpr48
                                        ; implicit-def: $vgpr46
                                        ; implicit-def: $vgpr1
                                        ; implicit-def: $vgpr45
                                        ; implicit-def: $vgpr44
	s_and_saveexec_b64 s[4:5], vcc
	s_xor_b64 s[4:5], exec, s[4:5]
; %bb.8:
	v_add_u32_e32 v48, 18, v42
	v_add_u32_e32 v46, 36, v42
	;; [unrolled: 1-line block ×5, first 2 shown]
; %bb.9:
	s_or_saveexec_b64 s[4:5], s[4:5]
                                        ; implicit-def: $vgpr7
                                        ; implicit-def: $vgpr3
                                        ; implicit-def: $vgpr9
                                        ; implicit-def: $vgpr5
                                        ; implicit-def: $vgpr15
                                        ; implicit-def: $vgpr11
                                        ; implicit-def: $vgpr17
                                        ; implicit-def: $vgpr13
                                        ; implicit-def: $vgpr23
                                        ; implicit-def: $vgpr19
                                        ; implicit-def: $vgpr25
                                        ; implicit-def: $vgpr21
	s_xor_b64 exec, exec, s[4:5]
	s_cbranch_execz .LBB0_11
; %bb.10:
	v_mad_u64_u32 v[2:3], s[18:19], s12, v47, 0
	v_mov_b32_e32 v4, v3
	v_mad_u64_u32 v[4:5], s[18:19], s13, v47, v[4:5]
	v_mov_b32_e32 v3, v4
	;; [unrolled: 2-line block ×3, first 2 shown]
	v_mad_u64_u32 v[6:7], s[18:19], s9, v42, v[6:7]
	s_lshl_b64 s[18:19], s[6:7], 3
	s_add_u32 s18, s10, s18
	s_addc_u32 s19, s11, s19
	v_add_u32_e32 v1, 0x6c, v42
	v_mov_b32_e32 v5, v6
	v_lshl_add_u64 v[18:19], v[2:3], 3, s[18:19]
	v_mad_u64_u32 v[2:3], s[18:19], s8, v1, 0
	v_lshl_add_u64 v[10:11], v[4:5], 3, v[18:19]
	v_mov_b32_e32 v4, v3
	v_mad_u64_u32 v[4:5], s[18:19], s9, v1, v[4:5]
	v_mov_b32_e32 v3, v4
	v_add_u32_e32 v48, 18, v42
	v_lshl_add_u64 v[12:13], v[2:3], 3, v[18:19]
	v_mad_u64_u32 v[2:3], s[18:19], s8, v48, 0
	v_mov_b32_e32 v4, v3
	v_mad_u64_u32 v[4:5], s[18:19], s9, v48, v[4:5]
	v_mov_b32_e32 v3, v4
	v_add_u32_e32 v1, 0x7e, v42
	v_lshl_add_u64 v[14:15], v[2:3], 3, v[18:19]
	v_mad_u64_u32 v[2:3], s[18:19], s8, v1, 0
	v_mov_b32_e32 v4, v3
	v_mad_u64_u32 v[4:5], s[18:19], s9, v1, v[4:5]
	v_mov_b32_e32 v3, v4
	v_add_u32_e32 v46, 36, v42
	v_lshl_add_u64 v[16:17], v[2:3], 3, v[18:19]
	global_load_dwordx2 v[2:3], v[10:11], off
	global_load_dwordx2 v[6:7], v[12:13], off
	;; [unrolled: 1-line block ×4, first 2 shown]
	v_mad_u64_u32 v[10:11], s[18:19], s8, v46, 0
	v_mov_b32_e32 v12, v11
	v_mad_u64_u32 v[12:13], s[18:19], s9, v46, v[12:13]
	v_mov_b32_e32 v11, v12
	v_add_u32_e32 v1, 0x90, v42
	v_lshl_add_u64 v[20:21], v[10:11], 3, v[18:19]
	v_mad_u64_u32 v[10:11], s[18:19], s8, v1, 0
	v_mov_b32_e32 v12, v11
	v_mad_u64_u32 v[12:13], s[18:19], s9, v1, v[12:13]
	v_mov_b32_e32 v11, v12
	v_add_u32_e32 v1, 54, v42
	v_lshl_add_u64 v[22:23], v[10:11], 3, v[18:19]
	;; [unrolled: 6-line block ×4, first 2 shown]
	global_load_dwordx2 v[10:11], v[20:21], off
	global_load_dwordx2 v[14:15], v[22:23], off
	;; [unrolled: 1-line block ×4, first 2 shown]
	v_mad_u64_u32 v[20:21], s[18:19], s8, v45, 0
	v_mov_b32_e32 v22, v21
	v_mad_u64_u32 v[22:23], s[18:19], s9, v45, v[22:23]
	v_mov_b32_e32 v21, v22
	v_add_u32_e32 v23, 0xb4, v42
	v_lshl_add_u64 v[26:27], v[20:21], 3, v[18:19]
	v_mad_u64_u32 v[20:21], s[18:19], s8, v23, 0
	v_mov_b32_e32 v22, v21
	v_mad_u64_u32 v[22:23], s[18:19], s9, v23, v[22:23]
	v_mov_b32_e32 v21, v22
	v_add_u32_e32 v44, 0x5a, v42
	v_lshl_add_u64 v[28:29], v[20:21], 3, v[18:19]
	;; [unrolled: 6-line block ×3, first 2 shown]
	v_mad_u64_u32 v[20:21], s[18:19], s8, v23, 0
	v_mov_b32_e32 v22, v21
	v_mad_u64_u32 v[22:23], s[18:19], s9, v23, v[22:23]
	v_mov_b32_e32 v21, v22
	v_lshl_add_u64 v[32:33], v[20:21], 3, v[18:19]
	global_load_dwordx2 v[18:19], v[26:27], off
	global_load_dwordx2 v[22:23], v[28:29], off
	;; [unrolled: 1-line block ×4, first 2 shown]
.LBB0_11:
	s_or_b64 exec, exec, s[4:5]
	s_cbranch_execz .LBB0_13
	s_branch .LBB0_14
.LBB0_12:
                                        ; implicit-def: $vgpr7
                                        ; implicit-def: $vgpr3
                                        ; implicit-def: $vgpr9
                                        ; implicit-def: $vgpr5
                                        ; implicit-def: $vgpr15
                                        ; implicit-def: $vgpr11
                                        ; implicit-def: $vgpr17
                                        ; implicit-def: $vgpr13
                                        ; implicit-def: $vgpr23
                                        ; implicit-def: $vgpr19
                                        ; implicit-def: $vgpr25
                                        ; implicit-def: $vgpr21
                                        ; implicit-def: $vgpr48
                                        ; implicit-def: $vgpr46
                                        ; implicit-def: $vgpr1
                                        ; implicit-def: $vgpr45
                                        ; implicit-def: $vgpr44
.LBB0_13:
	s_waitcnt vmcnt(11)
	v_mad_u64_u32 v[2:3], s[4:5], s12, v47, 0
	s_waitcnt vmcnt(9)
	v_mov_b32_e32 v4, v3
	v_mad_u64_u32 v[4:5], s[4:5], s13, v47, v[4:5]
	v_mov_b32_e32 v3, v4
	v_mad_u64_u32 v[4:5], s[4:5], s8, v42, 0
	;; [unrolled: 2-line block ×3, first 2 shown]
	s_lshl_b64 s[4:5], s[6:7], 3
	s_add_u32 s4, s10, s4
	s_addc_u32 s5, s11, s5
	v_add_u32_e32 v1, 0x6c, v42
	v_mov_b32_e32 v5, v6
	s_waitcnt vmcnt(3)
	v_lshl_add_u64 v[18:19], v[2:3], 3, s[4:5]
	v_mad_u64_u32 v[2:3], s[4:5], s8, v1, 0
	v_lshl_add_u64 v[10:11], v[4:5], 3, v[18:19]
	v_mov_b32_e32 v4, v3
	v_mad_u64_u32 v[4:5], s[4:5], s9, v1, v[4:5]
	v_mov_b32_e32 v3, v4
	v_add_u32_e32 v48, 18, v42
	v_lshl_add_u64 v[12:13], v[2:3], 3, v[18:19]
	v_mad_u64_u32 v[2:3], s[4:5], s8, v48, 0
	v_mov_b32_e32 v4, v3
	v_mad_u64_u32 v[4:5], s[4:5], s9, v48, v[4:5]
	v_mov_b32_e32 v3, v4
	v_add_u32_e32 v1, 0x7e, v42
	v_lshl_add_u64 v[14:15], v[2:3], 3, v[18:19]
	v_mad_u64_u32 v[2:3], s[4:5], s8, v1, 0
	v_mov_b32_e32 v4, v3
	v_mad_u64_u32 v[4:5], s[4:5], s9, v1, v[4:5]
	v_mov_b32_e32 v3, v4
	v_add_u32_e32 v46, 36, v42
	v_lshl_add_u64 v[16:17], v[2:3], 3, v[18:19]
	global_load_dwordx2 v[2:3], v[10:11], off
	global_load_dwordx2 v[6:7], v[12:13], off
	;; [unrolled: 1-line block ×4, first 2 shown]
	v_mad_u64_u32 v[10:11], s[4:5], s8, v46, 0
	v_mov_b32_e32 v12, v11
	v_mad_u64_u32 v[12:13], s[4:5], s9, v46, v[12:13]
	v_mov_b32_e32 v11, v12
	v_add_u32_e32 v1, 0x90, v42
	s_waitcnt vmcnt(5)
	v_lshl_add_u64 v[20:21], v[10:11], 3, v[18:19]
	v_mad_u64_u32 v[10:11], s[4:5], s8, v1, 0
	v_mov_b32_e32 v12, v11
	v_mad_u64_u32 v[12:13], s[4:5], s9, v1, v[12:13]
	v_mov_b32_e32 v11, v12
	v_add_u32_e32 v1, 54, v42
	v_lshl_add_u64 v[22:23], v[10:11], 3, v[18:19]
	v_mad_u64_u32 v[10:11], s[4:5], s8, v1, 0
	v_mov_b32_e32 v12, v11
	v_mad_u64_u32 v[12:13], s[4:5], s9, v1, v[12:13]
	v_mov_b32_e32 v11, v12
	v_add_u32_e32 v13, 0xa2, v42
	s_waitcnt vmcnt(4)
	v_lshl_add_u64 v[24:25], v[10:11], 3, v[18:19]
	v_mad_u64_u32 v[10:11], s[4:5], s8, v13, 0
	v_mov_b32_e32 v12, v11
	v_mad_u64_u32 v[12:13], s[4:5], s9, v13, v[12:13]
	v_mov_b32_e32 v11, v12
	v_add_u32_e32 v45, 0x48, v42
	v_lshl_add_u64 v[26:27], v[10:11], 3, v[18:19]
	global_load_dwordx2 v[10:11], v[20:21], off
	global_load_dwordx2 v[14:15], v[22:23], off
	;; [unrolled: 1-line block ×4, first 2 shown]
	v_mad_u64_u32 v[20:21], s[4:5], s8, v45, 0
	v_mov_b32_e32 v22, v21
	v_mad_u64_u32 v[22:23], s[4:5], s9, v45, v[22:23]
	v_mov_b32_e32 v21, v22
	v_add_u32_e32 v23, 0xb4, v42
	v_lshl_add_u64 v[26:27], v[20:21], 3, v[18:19]
	v_mad_u64_u32 v[20:21], s[4:5], s8, v23, 0
	v_mov_b32_e32 v22, v21
	v_mad_u64_u32 v[22:23], s[4:5], s9, v23, v[22:23]
	v_mov_b32_e32 v21, v22
	v_add_u32_e32 v44, 0x5a, v42
	v_lshl_add_u64 v[28:29], v[20:21], 3, v[18:19]
	;; [unrolled: 6-line block ×3, first 2 shown]
	v_mad_u64_u32 v[20:21], s[4:5], s8, v23, 0
	v_mov_b32_e32 v22, v21
	v_mad_u64_u32 v[22:23], s[4:5], s9, v23, v[22:23]
	v_mov_b32_e32 v21, v22
	v_lshl_add_u64 v[32:33], v[20:21], 3, v[18:19]
	global_load_dwordx2 v[18:19], v[26:27], off
	global_load_dwordx2 v[22:23], v[28:29], off
	;; [unrolled: 1-line block ×4, first 2 shown]
.LBB0_14:
	s_waitcnt vmcnt(10)
	v_pk_add_f32 v[6:7], v[2:3], v[6:7] neg_lo:[0,1] neg_hi:[0,1]
	v_lshlrev_b32_e32 v26, 7, v42
	v_lshlrev_b32_e32 v52, 3, v47
	v_add3_u32 v26, 0, v26, v52
	v_pk_fma_f32 v[2:3], v[2:3], 2.0, v[6:7] op_sel_hi:[1,0,1] neg_lo:[0,0,1] neg_hi:[0,0,1]
	s_waitcnt vmcnt(8)
	v_pk_add_f32 v[8:9], v[4:5], v[8:9] neg_lo:[0,1] neg_hi:[0,1]
	ds_write2_b64 v26, v[2:3], v[6:7] offset1:8
	v_lshlrev_b32_e32 v2, 7, v48
	v_add3_u32 v27, 0, v2, v52
	v_pk_fma_f32 v[2:3], v[4:5], 2.0, v[8:9] op_sel_hi:[1,0,1] neg_lo:[0,0,1] neg_hi:[0,0,1]
	s_waitcnt vmcnt(6)
	v_pk_add_f32 v[14:15], v[10:11], v[14:15] neg_lo:[0,1] neg_hi:[0,1]
	ds_write2_b64 v27, v[2:3], v[8:9] offset1:8
	;; [unrolled: 6-line block ×5, first 2 shown]
	v_lshlrev_b32_e32 v2, 7, v44
	v_add3_u32 v4, 0, v2, v52
	v_pk_fma_f32 v[2:3], v[20:21], 2.0, v[24:25] op_sel_hi:[1,0,1] neg_lo:[0,0,1] neg_hi:[0,0,1]
	v_bfe_u32 v53, v0, 3, 1
	ds_write2_b64 v4, v[2:3], v[24:25] offset1:8
	v_mul_u32_u24_e32 v2, 5, v53
	v_lshlrev_b32_e32 v11, 3, v2
	s_waitcnt lgkmcnt(0)
	s_barrier
	global_load_dwordx2 v[22:23], v11, s[14:15] offset:32
	global_load_dwordx4 v[2:5], v11, s[14:15]
	global_load_dwordx4 v[6:9], v11, s[14:15] offset:16
	v_lshlrev_b32_e32 v11, 6, v42
	v_lshrrev_b32_e32 v15, 4, v0
	v_lshlrev_b32_e32 v12, 6, v46
	v_lshlrev_b32_e32 v13, 6, v45
	;; [unrolled: 1-line block ×3, first 2 shown]
	v_mul_u32_u24_e32 v15, 12, v15
	v_sub_u32_e32 v49, v26, v11
	v_sub_u32_e32 v43, v28, v12
	;; [unrolled: 1-line block ×4, first 2 shown]
	v_or_b32_e32 v10, v15, v53
	v_add_u32_e32 v11, 0x1400, v49
	v_add_u32_e32 v14, 0x1e00, v49
	;; [unrolled: 1-line block ×3, first 2 shown]
	ds_read_b64 v[24:25], v50
	ds_read_b64 v[26:27], v51
	v_lshlrev_b32_e32 v38, 6, v10
	ds_read_b64 v[28:29], v43
	ds_read_b64 v[30:31], v49 offset:12672
	ds_read_b64 v[32:33], v49 offset:3456
	ds_read_b64 v[36:37], v49
	ds_read2_b64 v[10:13], v11 offset0:80 offset1:224
	ds_read2_b64 v[14:17], v14 offset0:48 offset1:192
	;; [unrolled: 1-line block ×3, first 2 shown]
	v_add3_u32 v64, 0, v38, v52
	s_mov_b32 s4, 0x3f5db3d7
	s_mov_b32 s5, 0.5
	s_waitcnt lgkmcnt(0)
	s_barrier
	s_mov_b32 s19, 0xbf5db3d7
	s_mov_b32 s18, s4
	v_cmp_gt_u32_e32 vcc, 48, v0
	s_waitcnt vmcnt(2)
	v_pk_mul_f32 v[38:39], v[30:31], v[22:23] op_sel:[0,1]
	s_waitcnt vmcnt(1)
	v_pk_mul_f32 v[40:41], v[2:3], v[28:29] op_sel:[0,1]
	v_pk_mul_f32 v[54:55], v[4:5], v[24:25] op_sel:[0,1]
	s_waitcnt vmcnt(0)
	v_pk_mul_f32 v[56:57], v[6:7], v[12:13] op_sel:[0,1]
	v_pk_mul_f32 v[58:59], v[8:9], v[16:17] op_sel:[0,1]
	;; [unrolled: 1-line block ×3, first 2 shown]
	v_pk_fma_f32 v[62:63], v[30:31], v[22:23], v[38:39] op_sel:[0,0,1] op_sel_hi:[1,1,0] neg_lo:[0,0,1] neg_hi:[0,0,1]
	v_pk_fma_f32 v[30:31], v[30:31], v[22:23], v[38:39] op_sel:[0,0,1] op_sel_hi:[1,0,0]
	v_pk_fma_f32 v[38:39], v[2:3], v[28:29], v[40:41] op_sel:[0,0,1] op_sel_hi:[1,1,0] neg_lo:[0,0,1] neg_hi:[0,0,1]
	v_pk_fma_f32 v[28:29], v[2:3], v[28:29], v[40:41] op_sel:[0,0,1] op_sel_hi:[1,0,0]
	;; [unrolled: 2-line block ×5, first 2 shown]
	v_mov_b32_e32 v55, v13
	v_mov_b32_e32 v57, v17
	v_pk_fma_f32 v[12:13], v[20:21], v[22:23], v[60:61] op_sel:[0,0,1] op_sel_hi:[1,1,0] neg_lo:[0,0,1] neg_hi:[0,0,1]
	v_pk_fma_f32 v[16:17], v[20:21], v[22:23], v[60:61] op_sel:[0,0,1] op_sel_hi:[1,0,0]
	v_mov_b32_e32 v20, v5
	v_pk_mul_f32 v[20:21], v[10:11], v[20:21] op_sel_hi:[1,0]
	v_mov_b32_e32 v39, v29
	v_pk_fma_f32 v[22:23], v[10:11], v[4:5], v[20:21] op_sel:[0,0,1] op_sel_hi:[1,0,0] neg_lo:[0,0,1] neg_hi:[0,0,1]
	v_pk_fma_f32 v[4:5], v[10:11], v[4:5], v[20:21] op_sel:[0,0,1] op_sel_hi:[1,0,0]
	v_pk_mul_f32 v[10:11], v[32:33], v[2:3] op_sel:[0,1]
	v_mov_b32_e32 v41, v25
	v_pk_fma_f32 v[20:21], v[32:33], v[2:3], v[10:11] op_sel:[0,0,1] op_sel_hi:[1,1,0] neg_lo:[0,0,1] neg_hi:[0,0,1]
	v_pk_fma_f32 v[2:3], v[32:33], v[2:3], v[10:11] op_sel:[0,0,1] op_sel_hi:[1,0,0]
	v_mov_b32_e32 v13, v17
	v_mov_b32_e32 v21, v3
	v_pk_mul_f32 v[2:3], v[14:15], v[6:7] op_sel:[0,1]
	v_pk_add_f32 v[16:17], v[36:37], v[40:41]
	v_pk_fma_f32 v[28:29], v[14:15], v[6:7], v[2:3] op_sel:[0,0,1] op_sel_hi:[1,1,0] neg_lo:[0,0,1] neg_hi:[0,0,1]
	v_pk_fma_f32 v[2:3], v[14:15], v[6:7], v[2:3] op_sel:[0,0,1] op_sel_hi:[1,0,0]
	v_pk_add_f32 v[58:59], v[40:41], v[56:57]
	v_mov_b32_e32 v2, v9
	v_mov_b32_e32 v29, v3
	v_pk_mul_f32 v[2:3], v[18:19], v[2:3] op_sel_hi:[1,0]
	v_pk_add_f32 v[40:41], v[40:41], v[56:57] neg_lo:[0,1] neg_hi:[0,1]
	v_pk_fma_f32 v[6:7], v[18:19], v[8:9], v[2:3] op_sel:[0,0,1] op_sel_hi:[1,0,0] neg_lo:[0,0,1] neg_hi:[0,0,1]
	v_pk_fma_f32 v[2:3], v[18:19], v[8:9], v[2:3] op_sel:[0,0,1] op_sel_hi:[1,0,0]
	v_pk_fma_f32 v[36:37], v[58:59], 0.5, v[36:37] op_sel_hi:[1,0,1] neg_lo:[1,0,0] neg_hi:[1,0,0]
	v_pk_mul_f32 v[40:41], v[40:41], s[4:5] op_sel_hi:[1,0]
	v_pk_add_f32 v[16:17], v[16:17], v[56:57]
	v_pk_add_f32 v[10:11], v[38:39], v[54:55]
	v_mov_b32_e32 v23, v5
	v_mov_b32_e32 v7, v3
	v_pk_add_f32 v[56:57], v[40:41], v[36:37] op_sel:[1,0] op_sel_hi:[0,1]
	v_pk_add_f32 v[40:41], v[36:37], v[40:41] op_sel:[0,1] op_sel_hi:[1,0] neg_lo:[0,1] neg_hi:[0,1]
	v_pk_add_f32 v[36:37], v[54:55], v[12:13]
	v_pk_add_f32 v[10:11], v[10:11], v[12:13]
	;; [unrolled: 1-line block ×3, first 2 shown]
	v_pk_fma_f32 v[36:37], v[36:37], 0.5, v[38:39] op_sel_hi:[1,0,1] neg_lo:[1,0,0] neg_hi:[1,0,0]
	v_pk_add_f32 v[12:13], v[54:55], v[12:13] neg_lo:[0,1] neg_hi:[0,1]
	v_mov_b32_e32 v63, v31
	v_fma_f32 v2, -0.5, v8, v26
	v_sub_f32_e32 v3, v5, v3
	v_pk_fma_f32 v[38:39], v[12:13], s[4:5], v[36:37] op_sel:[0,0,1] op_sel_hi:[1,0,0]
	v_pk_fma_f32 v[12:13], v[12:13], s[4:5], v[36:37] op_sel:[0,0,1] op_sel_hi:[1,0,0] neg_lo:[1,0,0] neg_hi:[1,0,0]
	v_mul_f32_e32 v4, 0x3f5db3d7, v3
	v_fmamk_f32 v14, v3, 0x3f5db3d7, v2
	v_pk_add_f32 v[32:33], v[28:29], v[62:63]
	v_mul_f32_e32 v3, 0x3f5db3d7, v12
	v_mul_f32_e32 v5, 0xbf5db3d7, v39
	v_pk_add_f32 v[30:31], v[20:21], v[28:29]
	v_pk_fma_f32 v[20:21], v[32:33], 0.5, v[20:21] op_sel_hi:[1,0,1] neg_lo:[1,0,0] neg_hi:[1,0,0]
	v_pk_add_f32 v[28:29], v[28:29], v[62:63] neg_lo:[0,1] neg_hi:[0,1]
	v_fmac_f32_e32 v3, 0.5, v39
	v_fmac_f32_e32 v5, 0.5, v12
	v_pk_add_f32 v[24:25], v[16:17], v[10:11]
	v_pk_mul_f32 v[32:33], v[28:29], s[4:5] op_sel_hi:[1,0]
	v_pk_fma_f32 v[58:59], v[28:29], s[4:5], v[20:21] op_sel:[0,0,1] op_sel_hi:[1,0,0]
	v_pk_fma_f32 v[28:29], v[28:29], s[4:5], v[20:21] op_sel:[0,0,1] op_sel_hi:[1,0,0] neg_lo:[1,0,0] neg_hi:[1,0,0]
	v_add_f32_e32 v36, v56, v3
	v_add_f32_e32 v37, v41, v5
	ds_write2_b64 v64, v[24:25], v[36:37] offset1:16
	v_pk_mul_f32 v[24:25], v[28:29], s[4:5]
	v_mov_b32_e32 v59, v29
	v_mov_b32_e32 v12, v25
	v_pk_fma_f32 v[24:25], v[58:59], s[4:5], v[12:13] neg_lo:[0,0,1] neg_hi:[0,0,1]
	v_mov_b32_e32 v12, v38
	v_pk_mul_f32 v[38:39], v[12:13], 0.5 op_sel_hi:[1,0]
	v_pk_add_f32 v[18:19], v[26:27], v[22:23]
	v_pk_fma_f32 v[12:13], v[12:13], s[18:19], v[38:39] op_sel:[0,0,1] op_sel_hi:[1,1,0] neg_lo:[0,0,1] neg_hi:[0,0,1]
	v_mov_b32_e32 v38, v40
	v_mov_b32_e32 v39, v57
	v_pk_add_f32 v[54:55], v[38:39], v[12:13]
	v_pk_add_f32 v[10:11], v[16:17], v[10:11] neg_lo:[0,1] neg_hi:[0,1]
	v_pk_add_f32 v[18:19], v[18:19], v[6:7]
	v_pk_add_f32 v[30:31], v[30:31], v[62:63]
	v_sub_f32_e32 v40, v56, v3
	v_sub_f32_e32 v41, v41, v5
	ds_write2_b64 v64, v[54:55], v[10:11] offset0:32 offset1:48
	v_pk_add_f32 v[10:11], v[38:39], v[12:13] neg_lo:[0,1] neg_hi:[0,1]
	v_lshrrev_b32_e32 v3, 1, v48
	v_mov_b32_e32 v12, v20
	v_mov_b32_e32 v13, v9
	v_mov_b32_e32 v17, 0.5
	v_mov_b32_e32 v16, v33
	v_mov_b32_e32 v20, v21
	v_mov_b32_e32 v21, v22
	v_mov_b32_e32 v33, v6
	v_pk_add_f32 v[36:37], v[18:19], v[30:31] neg_lo:[0,1] neg_hi:[0,1]
	ds_write2_b64 v64, v[40:41], v[10:11] offset0:64 offset1:80
	v_mul_lo_u32 v3, v3, 12
	v_pk_add_f32 v[10:11], v[18:19], v[30:31]
	v_pk_add_f32 v[18:19], v[12:13], v[16:17]
	v_pk_add_f32 v[6:7], v[20:21], v[32:33] neg_lo:[0,1] neg_hi:[0,1]
	v_mov_b32_e32 v20, v17
	v_mov_b32_e32 v21, v27
	v_or_b32_e32 v3, v3, v53
	v_pk_mul_f32 v[8:9], v[8:9], s[4:5]
	v_pk_mul_f32 v[22:23], v[20:21], v[18:19]
	v_pk_fma_f32 v[12:13], v[12:13], v[16:17], v[26:27] neg_lo:[1,0,0] neg_hi:[1,0,0]
	v_mov_b32_e32 v19, v58
	v_lshlrev_b32_e32 v3, 6, v3
	v_mov_b32_e32 v8, v18
	v_mov_b32_e32 v23, v13
	v_pk_mul_f32 v[12:13], v[6:7], s[4:5] op_sel_hi:[1,0]
	v_pk_mul_f32 v[18:19], v[18:19], s[4:5]
	v_mov_b32_e32 v28, v6
	s_mov_b32 s18, s5
	v_add3_u32 v40, 0, v3, v52
	v_pk_fma_f32 v[8:9], v[20:21], v[8:9], v[12:13]
	v_pk_fma_f32 v[16:17], v[6:7], s[4:5], v[22:23] op_sel_hi:[1,0,1] neg_lo:[1,0,0] neg_hi:[1,0,0]
	v_pk_fma_f32 v[18:19], v[28:29], s[18:19], v[18:19] neg_lo:[0,0,1] neg_hi:[0,0,1]
	v_mov_b32_e32 v3, v13
	v_mov_b32_e32 v5, v23
	;; [unrolled: 1-line block ×4, first 2 shown]
	v_pk_add_f32 v[2:3], v[2:3], v[4:5] neg_lo:[0,1] neg_hi:[0,1]
	v_pk_fma_f32 v[4:5], v[6:7], s[4:5], v[22:23] op_sel_hi:[1,0,1]
	v_pk_add_f32 v[20:21], v[8:9], v[14:15]
	v_mov_b32_e32 v9, v24
	v_mov_b32_e32 v3, v5
	;; [unrolled: 1-line block ×5, first 2 shown]
	v_pk_add_f32 v[2:3], v[2:3], v[24:25]
	v_pk_add_f32 v[38:39], v[14:15], v[8:9] neg_lo:[0,1] neg_hi:[0,1]
	v_pk_add_f32 v[4:5], v[4:5], v[18:19] neg_lo:[0,1] neg_hi:[0,1]
	ds_write2_b64 v40, v[2:3], v[36:37] offset0:32 offset1:48
	v_mov_b32_e32 v2, v38
	v_mov_b32_e32 v3, v4
	;; [unrolled: 1-line block ×4, first 2 shown]
	ds_write2_b64 v40, v[10:11], v[20:21] offset1:16
	ds_write2_b64 v40, v[2:3], v[6:7] offset0:64 offset1:80
	s_waitcnt lgkmcnt(0)
	s_barrier
	ds_read2st64_b64 v[18:21], v49 offset1:3
	ds_read2st64_b64 v[22:25], v49 offset0:6 offset1:12
	ds_read_b64 v[40:41], v50
	ds_read2st64_b64 v[26:29], v49 offset0:15 offset1:18
	ds_read2st64_b64 v[30:33], v49 offset0:21 offset1:24
	v_cmp_lt_u32_e64 s[4:5], 47, v0
	s_and_saveexec_b64 s[18:19], s[4:5]
	s_xor_b64 s[4:5], exec, s[18:19]
	s_or_saveexec_b64 s[4:5], s[4:5]
                                        ; implicit-def: $vgpr17
                                        ; implicit-def: $vgpr12
                                        ; implicit-def: $vgpr6
	s_xor_b64 exec, exec, s[4:5]
	s_cbranch_execz .LBB0_16
; %bb.15:
	ds_read_b64 v[36:37], v51
	v_add_u32_e32 v14, 0x80, v49
	ds_read2st64_b64 v[2:5], v14 offset0:5 offset1:8
	ds_read2st64_b64 v[6:9], v14 offset0:11 offset1:14
	;; [unrolled: 1-line block ×4, first 2 shown]
	s_waitcnt lgkmcnt(3)
	v_mov_b32_e32 v38, v2
	v_mov_b32_e32 v39, v4
	;; [unrolled: 1-line block ×3, first 2 shown]
.LBB0_16:
	s_or_b64 exec, exec, s[4:5]
	v_mul_lo_u16_e32 v53, 22, v42
	v_mov_b32_e32 v2, 12
	v_mul_lo_u16_sdwa v2, v53, v2 dst_sel:DWORD dst_unused:UNUSED_PAD src0_sel:BYTE_1 src1_sel:DWORD
	v_sub_u16_e32 v2, v42, v2
	v_and_b32_e32 v78, 0xff, v2
	v_lshlrev_b32_e32 v2, 6, v78
	global_load_dwordx4 v[54:57], v2, s[14:15] offset:80
	global_load_dwordx4 v[58:61], v2, s[14:15] offset:112
	;; [unrolled: 1-line block ×4, first 2 shown]
	s_movk_i32 s18, 0x6c
	s_waitcnt lgkmcnt(4)
	v_mov_b32_e32 v2, v20
	s_waitcnt lgkmcnt(0)
	v_mov_b32_e32 v75, v30
	v_mov_b32_e32 v77, v20
	;; [unrolled: 1-line block ×3, first 2 shown]
	v_mul_u32_u24_sdwa v30, v53, s18 dst_sel:DWORD dst_unused:UNUSED_PAD src0_sel:BYTE_1 src1_sel:DWORD
	v_mov_b32_e32 v70, v21
	v_mov_b32_e32 v71, v23
	;; [unrolled: 1-line block ×8, first 2 shown]
	v_add_lshl_u32 v30, v30, v78, 6
	v_mov_b32_e32 v3, v22
	v_mov_b32_e32 v74, v33
	v_add3_u32 v86, 0, v30, v52
	s_mov_b32 s4, 0x3f248dbb
	s_mov_b32 s5, 0x3f7c1c5c
	s_mov_b32 s18, s5
	s_mov_b32 s19, s4
	s_mov_b32 s20, 0x3f5db3d7
	s_mov_b32 s22, 0x3eaf1d44
	s_mov_b32 s24, 0x3f441b7d
	s_mov_b32 s26, 0x3e31d0d4
	s_mov_b32 s28, 0x3f708fb2
	s_barrier
	s_mov_b32 s34, s5
	s_mov_b32 s30, 0xbf248dbb
	s_waitcnt vmcnt(3)
	v_mov_b32_e32 v96, v54
	s_waitcnt vmcnt(2)
	v_pk_mul_f32 v[80:81], v[58:59], v[26:27] op_sel:[0,1]
	s_waitcnt vmcnt(1)
	v_pk_mul_f32 v[84:85], v[62:63], v[40:41]
	s_waitcnt vmcnt(0)
	v_mov_b32_e32 v88, v66
	v_mov_b32_e32 v89, v69
	v_pk_mul_f32 v[90:91], v[64:65], v[24:25] op_sel:[0,1]
	v_mov_b32_e32 v97, v57
	v_mov_b32_e32 v99, v54
	v_mov_b32_e32 v54, v57
	v_mov_b32_e32 v101, v66
	v_mov_b32_e32 v66, v69
	v_pk_fma_f32 v[102:103], v[58:59], v[26:27], v[80:81] op_sel:[0,0,1] op_sel_hi:[1,1,0] neg_lo:[0,0,1] neg_hi:[0,0,1]
	v_pk_fma_f32 v[26:27], v[58:59], v[26:27], v[80:81] op_sel:[0,0,1] op_sel_hi:[1,0,0]
	v_mov_b32_e32 v30, v55
	v_mov_b32_e32 v31, v56
	;; [unrolled: 1-line block ×8, first 2 shown]
	v_pk_mul_f32 v[32:33], v[88:89], v[32:33]
	v_mov_b32_e32 v26, v85
	v_pk_fma_f32 v[80:81], v[64:65], v[24:25], v[90:91] op_sel:[0,0,1] op_sel_hi:[1,1,0] neg_lo:[0,0,1] neg_hi:[0,0,1]
	v_pk_fma_f32 v[24:25], v[64:65], v[24:25], v[90:91] op_sel:[0,0,1] op_sel_hi:[1,0,0]
	v_pk_mul_f32 v[70:71], v[96:97], v[70:71]
	v_pk_mul_f32 v[22:23], v[54:55], v[22:23]
	;; [unrolled: 1-line block ×4, first 2 shown]
	v_pk_mul_f32 v[82:83], v[60:61], v[28:29] op_sel_hi:[1,0]
	v_pk_mul_f32 v[92:93], v[62:63], v[40:41] op_sel_hi:[1,0]
	v_pk_mul_f32 v[58:59], v[52:53], v[28:29]
	v_pk_mul_f32 v[64:65], v[86:87], v[40:41]
	v_pk_fma_f32 v[40:41], v[62:63], v[40:41], v[26:27] neg_lo:[0,0,1] neg_hi:[0,0,1]
	v_mov_b32_e32 v81, v25
	v_mov_b32_e32 v103, v27
	v_pk_fma_f32 v[24:25], v[30:31], v[2:3], v[70:71]
	v_pk_fma_f32 v[2:3], v[30:31], v[2:3], v[70:71] neg_lo:[0,0,1] neg_hi:[0,0,1]
	v_pk_fma_f32 v[26:27], v[56:57], v[76:77], v[22:23] op_sel_hi:[0,1,1]
	v_pk_fma_f32 v[22:23], v[98:99], v[76:77], v[22:23] neg_lo:[0,0,1] neg_hi:[0,0,1]
	v_pk_fma_f32 v[30:31], v[94:95], v[20:21], v[32:33]
	v_pk_fma_f32 v[20:21], v[94:95], v[20:21], v[32:33] neg_lo:[0,0,1] neg_hi:[0,0,1]
	v_pk_fma_f32 v[32:33], v[68:69], v[74:75], v[54:55] op_sel_hi:[0,1,1]
	v_pk_fma_f32 v[54:55], v[100:101], v[74:75], v[54:55] neg_lo:[0,0,1] neg_hi:[0,0,1]
	v_mov_b32_e32 v78, v79
	v_mov_b32_e32 v25, v3
	;; [unrolled: 1-line block ×9, first 2 shown]
	v_pk_fma_f32 v[28:29], v[60:61], v[28:29], v[78:79] neg_lo:[0,0,1] neg_hi:[0,0,1]
	v_pk_add_f32 v[2:3], v[24:25], v[32:33]
	v_pk_add_f32 v[20:21], v[26:27], v[30:31]
	v_pk_add_f32 v[22:23], v[24:25], v[32:33] neg_lo:[0,1] neg_hi:[0,1]
	v_pk_add_f32 v[24:25], v[26:27], v[30:31] neg_lo:[0,1] neg_hi:[0,1]
	v_pk_add_f32 v[26:27], v[58:59], v[82:83]
	v_pk_add_f32 v[32:33], v[64:65], v[92:93]
	v_pk_mul_f32 v[30:31], v[24:25], s[18:19]
	v_mov_b32_e32 v54, v33
	v_mov_b32_e32 v55, v40
	;; [unrolled: 1-line block ×4, first 2 shown]
	v_pk_fma_f32 v[30:31], v[22:23], s[4:5], v[30:31]
	v_pk_add_f32 v[54:55], v[54:55], v[56:57] neg_lo:[0,1] neg_hi:[0,1]
	v_pk_add_f32 v[56:57], v[80:81], v[102:103] neg_lo:[0,1] neg_hi:[0,1]
	v_pk_fma_f32 v[30:31], v[54:55], s[20:21], v[30:31] op_sel_hi:[1,0,1]
	v_pk_mul_f32 v[58:59], v[56:57], s[22:23] op_sel_hi:[1,0]
	v_mov_b32_e32 v41, v20
	v_pk_add_f32 v[30:31], v[58:59], v[30:31] op_sel:[1,0] op_sel_hi:[0,1]
	v_mov_b32_e32 v58, v26
	v_mov_b32_e32 v59, v2
	v_mov_b32_e32 v29, v2
	v_pk_fma_f32 v[60:61], v[58:59], s[24:25], v[18:19] op_sel_hi:[1,0,1]
	v_mov_b32_e32 v62, v32
	v_mov_b32_e32 v63, v20
	v_pk_add_f32 v[2:3], v[40:41], v[28:29]
	v_pk_add_f32 v[20:21], v[32:33], v[26:27]
	v_pk_fma_f32 v[60:61], v[62:63], s[26:27], v[60:61] op_sel_hi:[1,0,1]
	v_mov_b32_e32 v26, v2
	v_mov_b32_e32 v27, v21
	v_pk_fma_f32 v[28:29], v[26:27], 0.5, v[60:61] op_sel_hi:[1,0,1] neg_lo:[1,0,0] neg_hi:[1,0,0]
	v_pk_add_f32 v[32:33], v[80:81], v[102:103]
	v_pk_add_f32 v[60:61], v[20:21], v[2:3]
	v_pk_fma_f32 v[28:29], v[32:33], s[28:29], v[28:29] op_sel_hi:[1,0,1] neg_lo:[1,0,0] neg_hi:[1,0,0]
	v_pk_add_f32 v[60:61], v[80:81], v[60:61]
	v_pk_add_f32 v[40:41], v[28:29], v[30:31]
	v_pk_add_f32 v[28:29], v[28:29], v[30:31] neg_lo:[0,1] neg_hi:[0,1]
	v_pk_add_f32 v[60:61], v[102:103], v[60:61]
	v_mov_b32_e32 v41, v29
	v_pk_add_f32 v[60:61], v[18:19], v[60:61]
	v_fma_f32 v31, 2.0, v31, v29
	ds_write2_b64 v86, v[60:61], v[40:41] offset1:96
	v_mov_b32_e32 v28, v22
	v_mov_b32_e32 v29, v25
	v_pk_mul_f32 v[60:61], v[56:57], s[4:5] op_sel_hi:[1,0]
	v_pk_fma_f32 v[64:65], v[32:33], s[24:25], v[18:19] op_sel_hi:[1,0,1]
	v_pk_fma_f32 v[60:61], v[28:29], s[34:35], v[60:61] op_sel:[0,0,1] op_sel_hi:[1,0,0] neg_lo:[0,0,1] neg_hi:[0,0,1]
	v_pk_fma_f32 v[64:65], v[58:59], s[26:27], v[64:65] op_sel_hi:[1,0,1]
	v_fma_f32 v30, -2.0, v30, v40
	v_mov_b32_e32 v40, v24
	v_mov_b32_e32 v41, v23
	v_pk_fma_f32 v[60:61], v[54:55], s[20:21], v[60:61] op_sel_hi:[1,0,1] neg_lo:[1,0,0] neg_hi:[1,0,0]
	v_pk_fma_f32 v[64:65], v[26:27], 0.5, v[64:65] op_sel_hi:[1,0,1] neg_lo:[1,0,0] neg_hi:[1,0,0]
	v_pk_fma_f32 v[60:61], v[40:41], s[22:23], v[60:61] op_sel_hi:[1,0,1]
	v_pk_fma_f32 v[64:65], v[62:63], s[28:29], v[64:65] op_sel_hi:[1,0,1] neg_lo:[1,0,0] neg_hi:[1,0,0]
	v_mov_b32_e32 v21, v3
	v_pk_add_f32 v[66:67], v[64:65], v[60:61]
	v_pk_add_f32 v[64:65], v[64:65], v[60:61] neg_lo:[0,1] neg_hi:[0,1]
	v_pk_add_f32 v[2:3], v[32:33], v[20:21]
	v_fma_f32 v64, -2.0, v60, v66
	v_mov_b32_e32 v67, v65
	v_fmac_f32_e32 v65, 2.0, v61
	v_mov_b32_e32 v60, v25
	v_mov_b32_e32 v61, v22
	v_pk_add_f32 v[60:61], v[56:57], v[60:61]
	v_mov_b32_e32 v22, v23
	v_mov_b32_e32 v23, v24
	v_pk_add_f32 v[22:23], v[60:61], v[22:23] neg_lo:[0,1] neg_hi:[0,1]
	v_pk_add_f32 v[24:25], v[26:27], v[18:19]
	v_pk_mul_f32 v[22:23], v[22:23], s[20:21] op_sel_hi:[1,0]
	v_pk_fma_f32 v[2:3], v[2:3], 0.5, v[24:25] op_sel_hi:[1,0,1] neg_lo:[1,0,0] neg_hi:[1,0,0]
	v_pk_fma_f32 v[18:19], v[62:63], s[24:25], v[18:19] op_sel_hi:[1,0,1]
	v_pk_add_f32 v[20:21], v[2:3], v[22:23] op_sel:[0,1] op_sel_hi:[1,0]
	v_pk_add_f32 v[2:3], v[2:3], v[22:23] op_sel:[0,1] op_sel_hi:[1,0] neg_lo:[0,1] neg_hi:[0,1]
	v_pk_fma_f32 v[18:19], v[32:33], s[26:27], v[18:19] op_sel_hi:[1,0,1]
	v_mov_b32_e32 v21, v3
	v_fmac_f32_e32 v3, 2.0, v22
	v_add_u32_e32 v22, 0x400, v86
	v_fma_f32 v2, -2.0, v23, v20
	ds_write2_b64 v22, v[66:67], v[20:21] offset0:64 offset1:160
	v_pk_mul_f32 v[20:21], v[56:57], s[34:35] op_sel_hi:[1,0]
	v_pk_fma_f32 v[18:19], v[26:27], 0.5, v[18:19] op_sel_hi:[1,0,1] neg_lo:[1,0,0] neg_hi:[1,0,0]
	v_pk_fma_f32 v[20:21], v[40:41], s[30:31], v[20:21] op_sel:[0,0,1] op_sel_hi:[1,0,0] neg_lo:[0,0,1] neg_hi:[0,0,1]
	v_pk_fma_f32 v[18:19], v[58:59], s[28:29], v[18:19] op_sel_hi:[1,0,1] neg_lo:[1,0,0] neg_hi:[1,0,0]
	v_pk_fma_f32 v[20:21], v[54:55], s[20:21], v[20:21] op_sel_hi:[1,0,1]
	s_nop 0
	v_pk_fma_f32 v[20:21], v[28:29], s[22:23], v[20:21] op_sel_hi:[1,0,1]
	s_nop 0
	v_pk_add_f32 v[22:23], v[18:19], v[20:21]
	v_pk_add_f32 v[18:19], v[18:19], v[20:21] neg_lo:[0,1] neg_hi:[0,1]
	s_nop 0
	v_fma_f32 v18, -2.0, v20, v22
	v_mov_b32_e32 v23, v19
	v_fmac_f32_e32 v19, 2.0, v21
	v_add_u32_e32 v20, 0x800, v86
	ds_write2_b64 v20, v[22:23], v[18:19] offset0:128 offset1:224
	v_add_u32_e32 v18, 0x1000, v86
	ds_write2_b64 v18, v[2:3], v[64:65] offset0:64 offset1:160
	ds_write_b64 v86, v[30:31] offset:6144
	s_and_saveexec_b64 s[34:35], vcc
	s_cbranch_execz .LBB0_18
; %bb.17:
	s_movk_i32 s21, 0xab
	v_mul_lo_u16_sdwa v2, v48, s21 dst_sel:DWORD dst_unused:UNUSED_PAD src0_sel:BYTE_0 src1_sel:DWORD
	v_lshrrev_b16_e32 v2, 11, v2
	v_mul_lo_u16_e32 v2, 12, v2
	v_sub_u16_e32 v2, v48, v2
	v_lshlrev_b16_e32 v2, 3, v2
	v_and_b32_e32 v2, 0xf8, v2
	v_lshlrev_b32_e32 v41, 3, v2
	global_load_dwordx4 v[18:21], v41, s[14:15] offset:80
	global_load_dwordx4 v[22:25], v41, s[14:15] offset:128
	;; [unrolled: 1-line block ×4, first 2 shown]
	v_mov_b32_e32 v55, v14
	v_mov_b32_e32 v60, v14
	;; [unrolled: 1-line block ×14, first 2 shown]
	v_add3_u32 v41, 0, v41, v52
	s_waitcnt vmcnt(3)
	v_mov_b32_e32 v64, v19
	v_mov_b32_e32 v70, v21
	;; [unrolled: 1-line block ×3, first 2 shown]
	s_waitcnt vmcnt(2)
	v_mov_b32_e32 v72, v22
	v_mov_b32_e32 v73, v25
	s_waitcnt vmcnt(1)
	v_pk_mul_f32 v[74:75], v[6:7], v[26:27]
	v_mov_b32_e32 v19, v21
	v_mov_b32_e32 v79, v22
	;; [unrolled: 1-line block ×3, first 2 shown]
	v_pk_mul_f32 v[14:15], v[14:15], v[28:29] op_sel_hi:[0,1]
	s_waitcnt vmcnt(0)
	v_pk_mul_f32 v[62:63], v[62:63], v[30:31] op_sel_hi:[0,1]
	v_mov_b32_e32 v9, v32
	v_mov_b32_e32 v11, v26
	;; [unrolled: 1-line block ×8, first 2 shown]
	v_pk_mul_f32 v[58:59], v[58:59], v[70:71]
	v_pk_mul_f32 v[16:17], v[16:17], v[72:73]
	v_mov_b32_e32 v70, v75
	v_pk_mul_f32 v[4:5], v[4:5], v[18:19]
	v_pk_mul_f32 v[2:3], v[2:3], v[22:23]
	;; [unrolled: 1-line block ×4, first 2 shown]
	v_pk_fma_f32 v[74:75], v[10:11], v[30:31], v[62:63] op_sel:[0,0,1] op_sel_hi:[1,1,0] neg_lo:[0,0,1] neg_hi:[0,0,1]
	v_pk_fma_f32 v[10:11], v[10:11], v[30:31], v[62:63] op_sel:[0,0,1] op_sel_hi:[0,1,0]
	v_pk_fma_f32 v[30:31], v[8:9], v[28:29], v[14:15] op_sel:[0,0,1] op_sel_hi:[1,1,0] neg_lo:[0,0,1] neg_hi:[0,0,1]
	v_pk_fma_f32 v[8:9], v[8:9], v[28:29], v[14:15] op_sel:[0,0,1] op_sel_hi:[0,1,0]
	v_pk_mul_f32 v[76:77], v[12:13], v[32:33]
	v_pk_mul_f32 v[80:81], v[12:13], v[32:33] op_sel_hi:[0,1]
	v_pk_mul_f32 v[82:83], v[6:7], v[26:27] op_sel_hi:[0,1]
	v_mov_b32_e32 v75, v11
	v_mov_b32_e32 v31, v9
	v_pk_fma_f32 v[8:9], v[60:61], v[66:67], v[16:17]
	v_pk_fma_f32 v[10:11], v[60:61], v[66:67], v[16:17] neg_lo:[0,0,1] neg_hi:[0,0,1]
	v_pk_fma_f32 v[14:15], v[56:57], v[20:21], v[58:59] op_sel_hi:[1,0,1]
	v_pk_fma_f32 v[16:17], v[56:57], v[68:69], v[58:59] neg_lo:[0,0,1] neg_hi:[0,0,1]
	v_pk_fma_f32 v[20:21], v[40:41], v[24:25], v[2:3] op_sel_hi:[1,0,1]
	v_pk_fma_f32 v[2:3], v[54:55], v[78:79], v[2:3] neg_lo:[0,0,1] neg_hi:[0,0,1]
	v_pk_fma_f32 v[24:25], v[38:39], v[64:65], v[4:5]
	v_pk_fma_f32 v[4:5], v[38:39], v[64:65], v[4:5] neg_lo:[0,0,1] neg_hi:[0,0,1]
	v_mov_b32_e32 v72, v77
	v_mov_b32_e32 v9, v11
	;; [unrolled: 1-line block ×9, first 2 shown]
	v_pk_fma_f32 v[6:7], v[6:7], v[26:27], v[70:71] neg_lo:[0,0,1] neg_hi:[0,0,1]
	v_pk_fma_f32 v[12:13], v[12:13], v[32:33], v[72:73] neg_lo:[0,0,1] neg_hi:[0,0,1]
	v_pk_add_f32 v[10:11], v[14:15], v[8:9] neg_lo:[0,1] neg_hi:[0,1]
	v_pk_add_f32 v[16:17], v[24:25], v[20:21] neg_lo:[0,1] neg_hi:[0,1]
	v_pk_add_f32 v[8:9], v[14:15], v[8:9]
	v_pk_add_f32 v[14:15], v[24:25], v[20:21]
	;; [unrolled: 1-line block ×4, first 2 shown]
	v_mov_b32_e32 v7, v8
	v_mov_b32_e32 v4, v19
	v_pk_add_f32 v[24:25], v[20:21], v[18:19]
	v_mov_b32_e32 v13, v14
	v_mov_b32_e32 v19, v14
	;; [unrolled: 1-line block ×4, first 2 shown]
	v_pk_mul_f32 v[22:23], v[10:11], s[18:19]
	v_mov_b32_e32 v2, v21
	v_pk_add_f32 v[6:7], v[6:7], v[12:13]
	v_mov_b32_e32 v21, v8
	v_pk_fma_f32 v[8:9], v[18:19], s[24:25], v[36:37] op_sel_hi:[1,0,1]
	v_pk_add_f32 v[26:27], v[30:31], v[74:75] neg_lo:[0,1] neg_hi:[0,1]
	v_pk_fma_f32 v[22:23], v[16:17], s[4:5], v[22:23]
	v_pk_add_f32 v[2:3], v[2:3], v[4:5] neg_lo:[0,1] neg_hi:[0,1]
	v_mov_b32_e32 v12, v6
	v_mov_b32_e32 v13, v25
	v_pk_add_f32 v[28:29], v[24:25], v[6:7]
	v_pk_fma_f32 v[8:9], v[20:21], s[26:27], v[8:9] op_sel_hi:[1,0,1]
	v_pk_add_f32 v[4:5], v[30:31], v[74:75]
	v_pk_add_f32 v[28:29], v[30:31], v[28:29]
	v_pk_fma_f32 v[22:23], v[2:3], s[20:21], v[22:23] op_sel_hi:[1,0,1]
	v_pk_mul_f32 v[30:31], v[26:27], s[22:23] op_sel_hi:[1,0]
	v_pk_fma_f32 v[8:9], v[12:13], 0.5, v[8:9] op_sel_hi:[1,0,1] neg_lo:[1,0,0] neg_hi:[1,0,0]
	v_pk_add_f32 v[22:23], v[30:31], v[22:23] op_sel:[1,0] op_sel_hi:[0,1]
	v_pk_fma_f32 v[8:9], v[4:5], s[28:29], v[8:9] op_sel_hi:[1,0,1] neg_lo:[1,0,0] neg_hi:[1,0,0]
	v_pk_add_f32 v[28:29], v[74:75], v[28:29]
	v_pk_add_f32 v[14:15], v[8:9], v[22:23]
	v_pk_add_f32 v[8:9], v[8:9], v[22:23] neg_lo:[0,1] neg_hi:[0,1]
	v_pk_add_f32 v[28:29], v[36:37], v[28:29]
	v_mov_b32_e32 v15, v9
	v_mov_b32_e32 v30, v14
	v_add_u32_e32 v6, 0x1800, v41
	v_fma_f32 v31, 2.0, v23, v9
	v_fmac_f32_e32 v30, -2.0, v22
	ds_write2_b64 v6, v[28:29], v[14:15] offset0:96 offset1:192
	v_mov_b32_e32 v14, v16
	v_mov_b32_e32 v15, v11
	s_mov_b32 s18, s5
	v_pk_mul_f32 v[22:23], v[26:27], s[4:5] op_sel_hi:[1,0]
	v_pk_fma_f32 v[28:29], v[4:5], s[24:25], v[36:37] op_sel_hi:[1,0,1]
	v_pk_fma_f32 v[22:23], v[14:15], s[18:19], v[22:23] op_sel:[0,0,1] op_sel_hi:[1,0,0] neg_lo:[0,0,1] neg_hi:[0,0,1]
	v_pk_fma_f32 v[28:29], v[18:19], s[26:27], v[28:29] op_sel_hi:[1,0,1]
	v_mov_b32_e32 v8, v10
	v_mov_b32_e32 v9, v17
	v_pk_fma_f32 v[22:23], v[2:3], s[20:21], v[22:23] op_sel_hi:[1,0,1] neg_lo:[1,0,0] neg_hi:[1,0,0]
	v_pk_fma_f32 v[28:29], v[12:13], 0.5, v[28:29] op_sel_hi:[1,0,1] neg_lo:[1,0,0] neg_hi:[1,0,0]
	v_pk_fma_f32 v[22:23], v[8:9], s[22:23], v[22:23] op_sel_hi:[1,0,1]
	v_pk_fma_f32 v[28:29], v[20:21], s[28:29], v[28:29] op_sel_hi:[1,0,1] neg_lo:[1,0,0] neg_hi:[1,0,0]
	v_mov_b32_e32 v25, v7
	v_pk_add_f32 v[32:33], v[28:29], v[22:23]
	v_pk_add_f32 v[28:29], v[28:29], v[22:23] neg_lo:[0,1] neg_hi:[0,1]
	v_mov_b32_e32 v38, v32
	v_fma_f32 v39, 2.0, v23, v29
	v_fmac_f32_e32 v38, -2.0, v22
	v_mov_b32_e32 v22, v11
	v_mov_b32_e32 v23, v16
	v_pk_add_f32 v[22:23], v[26:27], v[22:23]
	v_mov_b32_e32 v16, v17
	v_mov_b32_e32 v17, v10
	v_pk_add_f32 v[10:11], v[22:23], v[16:17] neg_lo:[0,1] neg_hi:[0,1]
	v_pk_add_f32 v[16:17], v[36:37], v[12:13]
	v_pk_add_f32 v[6:7], v[4:5], v[24:25]
	v_pk_mul_f32 v[10:11], v[10:11], s[20:21] op_sel_hi:[1,0]
	v_pk_fma_f32 v[6:7], v[6:7], 0.5, v[16:17] op_sel_hi:[1,0,1] neg_lo:[1,0,0] neg_hi:[1,0,0]
	v_mov_b32_e32 v33, v29
	v_pk_add_f32 v[16:17], v[6:7], v[10:11] op_sel:[0,1] op_sel_hi:[1,0]
	v_pk_add_f32 v[6:7], v[6:7], v[10:11] op_sel:[0,1] op_sel_hi:[1,0] neg_lo:[0,1] neg_hi:[0,1]
	v_mov_b32_e32 v22, v16
	v_mov_b32_e32 v17, v7
	v_add_u32_e32 v6, 0x2000, v41
	v_fma_f32 v23, 2.0, v10, v7
	ds_write2_b64 v6, v[32:33], v[16:17] offset0:32 offset1:128
	v_pk_mul_f32 v[6:7], v[26:27], s[18:19] op_sel_hi:[1,0]
	v_fmac_f32_e32 v22, -2.0, v11
	v_pk_fma_f32 v[6:7], v[8:9], s[30:31], v[6:7] op_sel:[0,0,1] op_sel_hi:[1,0,0] neg_lo:[0,0,1] neg_hi:[0,0,1]
	s_nop 0
	v_pk_fma_f32 v[2:3], v[2:3], s[20:21], v[6:7] op_sel_hi:[1,0,1]
	v_pk_fma_f32 v[6:7], v[20:21], s[24:25], v[36:37] op_sel_hi:[1,0,1]
	;; [unrolled: 1-line block ×4, first 2 shown]
	s_nop 0
	v_pk_fma_f32 v[4:5], v[12:13], 0.5, v[4:5] op_sel_hi:[1,0,1] neg_lo:[1,0,0] neg_hi:[1,0,0]
	s_nop 0
	v_pk_fma_f32 v[4:5], v[18:19], s[28:29], v[4:5] op_sel_hi:[1,0,1] neg_lo:[1,0,0] neg_hi:[1,0,0]
	s_nop 0
	v_pk_add_f32 v[6:7], v[4:5], v[2:3]
	v_pk_add_f32 v[4:5], v[4:5], v[2:3] neg_lo:[0,1] neg_hi:[0,1]
	v_mov_b32_e32 v8, v6
	v_fma_f32 v9, 2.0, v3, v5
	v_mov_b32_e32 v7, v5
	v_fmac_f32_e32 v8, -2.0, v2
	v_add_u32_e32 v2, 0x2400, v41
	ds_write2_b64 v2, v[6:7], v[8:9] offset0:96 offset1:192
	v_add_u32_e32 v2, 0x2c00, v41
	ds_write2_b64 v2, v[22:23], v[38:39] offset0:32 offset1:128
	ds_write_b64 v41, v[30:31] offset:13056
.LBB0_18:
	s_or_b64 exec, exec, s[34:35]
	v_cmp_gt_u64_e32 vcc, s[16:17], v[34:35]
	s_or_b64 s[2:3], s[2:3], vcc
	s_waitcnt lgkmcnt(0)
	s_barrier
	s_and_saveexec_b64 s[4:5], s[2:3]
	s_cbranch_execz .LBB0_20
; %bb.19:
	v_mov_b32_e32 v2, 19
	v_mul_lo_u16_sdwa v2, v44, v2 dst_sel:DWORD dst_unused:UNUSED_PAD src0_sel:BYTE_0 src1_sel:DWORD
	v_lshrrev_b16_e32 v2, 11, v2
	v_mul_lo_u16_e32 v2, 0x6c, v2
	v_sub_u16_e32 v2, v44, v2
	v_and_b32_e32 v15, 0xff, v2
	v_add_u32_e32 v2, 0x6c, v15
	s_movk_i32 s2, 0x120
	v_mul_lo_u32 v7, v34, v2
	v_subrev_u32_e32 v2, 36, v42
	v_cmp_gt_u32_e32 vcc, s2, v0
	s_load_dwordx2 s[0:1], s[0:1], 0x8
	v_mov_b32_e32 v11, 0x1000
	v_cndmask_b32_e32 v6, v2, v45, vcc
	v_add_u32_e32 v2, 0x6c, v6
	v_mul_lo_u32 v2, v34, v2
	v_bfe_u32 v3, v2, 16, 8
	v_mov_b32_e32 v23, 3
	v_mul_lo_u32 v8, v34, v15
	v_lshl_or_b32 v9, v3, 3, v11
	v_lshlrev_b32_sdwa v10, v23, v2 dst_sel:DWORD dst_unused:UNUSED_PAD src0_sel:DWORD src1_sel:BYTE_0
	v_lshlrev_b32_sdwa v12, v23, v2 dst_sel:DWORD dst_unused:UNUSED_PAD src0_sel:DWORD src1_sel:BYTE_1
	s_waitcnt lgkmcnt(0)
	global_load_dwordx2 v[2:3], v9, s[0:1]
	global_load_dwordx2 v[4:5], v10, s[0:1]
	global_load_dwordx2 v[16:17], v12, s[0:1] offset:2048
	v_lshlrev_b32_sdwa v9, v23, v8 dst_sel:DWORD dst_unused:UNUSED_PAD src0_sel:DWORD src1_sel:BYTE_0
	v_lshlrev_b32_sdwa v10, v23, v8 dst_sel:DWORD dst_unused:UNUSED_PAD src0_sel:DWORD src1_sel:BYTE_1
	global_load_dwordx2 v[24:25], v9, s[0:1]
	global_load_dwordx2 v[26:27], v10, s[0:1] offset:2048
	v_lshlrev_b32_sdwa v9, v23, v7 dst_sel:DWORD dst_unused:UNUSED_PAD src0_sel:DWORD src1_sel:BYTE_0
	v_bfe_u32 v8, v8, 16, 8
	v_lshlrev_b32_sdwa v10, v23, v7 dst_sel:DWORD dst_unused:UNUSED_PAD src0_sel:DWORD src1_sel:BYTE_1
	global_load_dwordx2 v[28:29], v9, s[0:1]
	global_load_dwordx2 v[30:31], v10, s[0:1] offset:2048
	v_lshl_or_b32 v8, v8, 3, v11
	v_bfe_u32 v7, v7, 16, 8
	global_load_dwordx2 v[32:33], v8, s[0:1]
	v_lshl_or_b32 v7, v7, 3, v11
	global_load_dwordx2 v[36:37], v7, s[0:1]
	v_mul_lo_u32 v12, v34, v6
	v_lshlrev_b32_sdwa v7, v23, v12 dst_sel:DWORD dst_unused:UNUSED_PAD src0_sel:DWORD src1_sel:BYTE_0
	v_lshlrev_b32_sdwa v8, v23, v12 dst_sel:DWORD dst_unused:UNUSED_PAD src0_sel:DWORD src1_sel:BYTE_1
	global_load_dwordx2 v[38:39], v7, s[0:1]
	global_load_dwordx2 v[40:41], v8, s[0:1] offset:2048
	s_movk_i32 s2, 0x1b0
	v_subrev_u32_e32 v7, 54, v42
	v_cmp_gt_u32_e32 vcc, s2, v0
	s_movk_i32 s2, 0x240
	v_add_u32_e32 v9, 0xffffffb8, v42
	v_cndmask_b32_e32 v10, v7, v1, vcc
	v_mul_lo_u32 v35, v34, v10
	v_lshlrev_b32_sdwa v7, v23, v35 dst_sel:DWORD dst_unused:UNUSED_PAD src0_sel:DWORD src1_sel:BYTE_0
	v_lshlrev_b32_sdwa v8, v23, v35 dst_sel:DWORD dst_unused:UNUSED_PAD src0_sel:DWORD src1_sel:BYTE_1
	global_load_dwordx2 v[54:55], v7, s[0:1]
	global_load_dwordx2 v[56:57], v8, s[0:1] offset:2048
	v_cmp_gt_u32_e32 vcc, s2, v0
	v_lshlrev_b32_e32 v8, 6, v44
	v_add3_u32 v8, 0, v8, v52
	v_cndmask_b32_e32 v22, v9, v46, vcc
	v_mul_lo_u32 v66, v34, v22
	v_bfe_u32 v12, v12, 16, 8
	v_lshlrev_b32_sdwa v13, v23, v66 dst_sel:DWORD dst_unused:UNUSED_PAD src0_sel:DWORD src1_sel:BYTE_0
	v_lshlrev_b32_sdwa v14, v23, v66 dst_sel:DWORD dst_unused:UNUSED_PAD src0_sel:DWORD src1_sel:BYTE_1
	ds_read_b64 v[8:9], v8
	v_lshl_or_b32 v18, v12, 3, v11
	global_load_dwordx2 v[58:59], v13, s[0:1]
	global_load_dwordx2 v[60:61], v14, s[0:1] offset:2048
	v_lshlrev_b32_e32 v14, 3, v15
	global_load_dwordx2 v[62:63], v18, s[0:1]
	global_load_dwordx2 v[12:13], v14, s[14:15] offset:848
	s_movk_i32 s2, 0x2d0
	v_cmp_gt_u32_e32 vcc, s2, v0
	s_movk_i32 s2, 0x360
	v_mov_b32_e32 v7, 0
	v_lshl_add_u64 v[20:21], v[6:7], 3, s[14:15]
	v_add_u32_e32 v53, 0x2c00, v49
	s_waitcnt vmcnt(14)
	v_mul_f32_e32 v14, v4, v16
	v_pk_mul_f32 v[18:19], v[4:5], v[16:17] op_sel:[1,0] op_sel_hi:[0,1]
	v_fma_f32 v94, -v5, v17, v14
	s_waitcnt vmcnt(12)
	v_mul_f32_e32 v14, v24, v27
	v_add_f32_e32 v95, v18, v19
	v_mul_f32_e32 v4, v25, v27
	v_fmac_f32_e32 v14, v25, v26
	s_waitcnt vmcnt(10)
	v_mul_f32_e32 v19, v28, v30
	v_fma_f32 v16, v24, v26, -v4
	v_pk_mul_f32 v[4:5], v[28:29], v[30:31] op_sel:[1,0] op_sel_hi:[0,1]
	s_waitcnt vmcnt(9)
	v_mul_f32_e32 v24, v14, v33
	v_fma_f32 v25, -v29, v31, v19
	v_mul_f32_e32 v17, v16, v33
	v_add_f32_e32 v4, v4, v5
	v_fma_f32 v19, v32, v16, -v24
	s_waitcnt vmcnt(8)
	v_mul_f32_e32 v16, v25, v37
	v_mul_f32_e32 v5, v4, v37
	v_fmac_f32_e32 v16, v36, v4
	s_waitcnt vmcnt(6)
	v_mul_f32_e32 v4, v39, v41
	v_fmac_f32_e32 v17, v32, v14
	v_fma_f32 v14, v36, v25, -v5
	v_fma_f32 v25, v38, v40, -v4
	v_add_u32_e32 v4, 0x6c, v10
	v_mul_lo_u32 v4, v34, v4
	v_bfe_u32 v5, v4, 16, 8
	v_lshl_or_b32 v5, v5, 3, v11
	v_lshlrev_b32_sdwa v24, v23, v4 dst_sel:DWORD dst_unused:UNUSED_PAD src0_sel:DWORD src1_sel:BYTE_0
	v_lshlrev_b32_sdwa v4, v23, v4 dst_sel:DWORD dst_unused:UNUSED_PAD src0_sel:DWORD src1_sel:BYTE_1
	global_load_dwordx2 v[32:33], v5, s[0:1]
	global_load_dwordx2 v[30:31], v24, s[0:1]
	global_load_dwordx2 v[36:37], v4, s[0:1] offset:2048
	v_bfe_u32 v4, v35, 16, 8
	v_lshl_or_b32 v4, v4, 3, v11
	global_load_dwordx2 v[64:65], v4, s[0:1]
	s_waitcnt vmcnt(8)
	v_mul_f32_e32 v4, v55, v57
	v_fma_f32 v29, v54, v56, -v4
	v_add_u32_e32 v4, 0x6c, v22
	v_mul_lo_u32 v4, v34, v4
	v_bfe_u32 v5, v4, 16, 8
	v_mul_f32_e32 v26, v38, v41
	v_lshl_or_b32 v5, v5, 3, v11
	v_lshlrev_b32_sdwa v24, v23, v4 dst_sel:DWORD dst_unused:UNUSED_PAD src0_sel:DWORD src1_sel:BYTE_0
	v_lshlrev_b32_sdwa v4, v23, v4 dst_sel:DWORD dst_unused:UNUSED_PAD src0_sel:DWORD src1_sel:BYTE_1
	v_bfe_u32 v27, v66, 16, 8
	v_fmac_f32_e32 v26, v39, v40
	global_load_dwordx2 v[66:67], v5, s[0:1]
	global_load_dwordx2 v[38:39], v24, s[0:1]
	global_load_dwordx2 v[68:69], v4, s[0:1] offset:2048
	v_lshl_or_b32 v4, v27, 3, v11
	global_load_dwordx2 v[70:71], v4, s[0:1]
	v_add_u32_e32 v4, 0xffffffa6, v42
	v_cndmask_b32_e32 v28, v4, v48, vcc
	v_add_u32_e32 v4, 0x6c, v28
	v_mul_lo_u32 v4, v34, v4
	v_mul_lo_u32 v24, v34, v28
	v_bfe_u32 v5, v4, 16, 8
	v_lshlrev_b32_sdwa v27, v23, v24 dst_sel:DWORD dst_unused:UNUSED_PAD src0_sel:DWORD src1_sel:BYTE_0
	v_lshlrev_b32_sdwa v40, v23, v24 dst_sel:DWORD dst_unused:UNUSED_PAD src0_sel:DWORD src1_sel:BYTE_1
	global_load_dwordx2 v[72:73], v27, s[0:1]
	global_load_dwordx2 v[74:75], v40, s[0:1] offset:2048
	v_lshl_or_b32 v5, v5, 3, v11
	v_lshlrev_b32_sdwa v27, v23, v4 dst_sel:DWORD dst_unused:UNUSED_PAD src0_sel:DWORD src1_sel:BYTE_0
	v_lshlrev_b32_sdwa v4, v23, v4 dst_sel:DWORD dst_unused:UNUSED_PAD src0_sel:DWORD src1_sel:BYTE_1
	global_load_dwordx2 v[76:77], v5, s[0:1]
	global_load_dwordx2 v[78:79], v27, s[0:1]
	global_load_dwordx2 v[80:81], v4, s[0:1] offset:2048
	v_bfe_u32 v4, v24, 16, 8
	v_lshl_or_b32 v4, v4, 3, v11
	v_mul_f32_e32 v35, v54, v57
	global_load_dwordx2 v[82:83], v4, s[0:1]
	v_add_u32_e32 v4, 0xffffff94, v42
	v_cmp_gt_u32_e32 vcc, s2, v0
	v_fmac_f32_e32 v35, v55, v56
	v_mul_f32_e32 v18, v94, v3
	v_cndmask_b32_e32 v56, v4, v42, vcc
	v_mul_lo_u32 v4, v34, v56
	v_lshlrev_b32_sdwa v5, v23, v4 dst_sel:DWORD dst_unused:UNUSED_PAD src0_sel:DWORD src1_sel:BYTE_0
	v_lshlrev_b32_sdwa v24, v23, v4 dst_sel:DWORD dst_unused:UNUSED_PAD src0_sel:DWORD src1_sel:BYTE_1
	global_load_dwordx2 v[84:85], v5, s[0:1]
	global_load_dwordx2 v[86:87], v24, s[0:1] offset:2048
	v_add_u32_e32 v5, 0x6c, v56
	v_mul_lo_u32 v5, v34, v5
	v_bfe_u32 v24, v5, 16, 8
	v_lshl_or_b32 v24, v24, 3, v11
	v_mul_f32_e32 v3, v95, v3
	v_lshlrev_b32_sdwa v27, v23, v5 dst_sel:DWORD dst_unused:UNUSED_PAD src0_sel:DWORD src1_sel:BYTE_0
	v_lshlrev_b32_sdwa v5, v23, v5 dst_sel:DWORD dst_unused:UNUSED_PAD src0_sel:DWORD src1_sel:BYTE_1
	global_load_dwordx2 v[88:89], v24, s[0:1]
	global_load_dwordx2 v[90:91], v27, s[0:1]
	global_load_dwordx2 v[92:93], v5, s[0:1] offset:2048
	v_fmac_f32_e32 v18, v2, v95
	v_fma_f32 v24, v2, v94, -v3
	s_waitcnt vmcnt(21)
	v_mul_f32_e32 v2, v59, v61
	v_fma_f32 v42, v58, v60, -v2
	v_bfe_u32 v2, v4, 16, 8
	v_lshl_or_b32 v2, v2, 3, v11
	global_load_dwordx2 v[94:95], v2, s[0:1]
	s_waitcnt vmcnt(21)
	v_mul_f32_e32 v11, v26, v63
	v_fma_f32 v96, v62, v25, -v11
	v_lshlrev_b32_e32 v11, 6, v1
	v_mul_f32_e32 v25, v25, v63
	v_add3_u32 v11, 0, v11, v52
	v_fmac_f32_e32 v25, v62, v26
	ds_read_b64 v[26:27], v11
	v_mov_b32_e32 v11, v7
	v_lshl_add_u64 v[40:41], v[10:11], 3, s[14:15]
	v_mov_b32_e32 v57, v7
	v_mul_f32_e32 v54, v58, v61
	v_fmac_f32_e32 v54, v59, v60
	ds_read2_b64 v[2:5], v53 offset0:32 offset1:176
	s_waitcnt vmcnt(17)
	v_mul_f32_e32 v23, v30, v36
	v_fma_f32 v23, -v31, v37, v23
	v_pk_mul_f32 v[30:31], v[30:31], v[36:37] op_sel:[1,0] op_sel_hi:[0,1]
	s_waitcnt vmcnt(16)
	v_mul_f32_e32 v11, v35, v65
	v_mul_f32_e32 v65, v29, v65
	v_fmac_f32_e32 v65, v64, v35
	v_lshl_add_u64 v[34:35], v[56:57], 3, s[14:15]
	global_load_dwordx2 v[58:59], v[34:35], off offset:848
	v_fma_f32 v97, v64, v29, -v11
	v_add_f32_e32 v11, v30, v31
	v_mul_f32_e32 v30, v23, v33
	v_fmac_f32_e32 v30, v32, v11
	v_mul_f32_e32 v11, v11, v33
	v_fma_f32 v32, v32, v23, -v11
	v_mov_b32_e32 v23, v7
	s_waitcnt vmcnt(14)
	v_mul_f32_e32 v29, v38, v68
	v_fma_f32 v29, -v39, v69, v29
	v_pk_mul_f32 v[34:35], v[38:39], v[68:69] op_sel:[1,0] op_sel_hi:[0,1]
	v_add_f32_e32 v31, v34, v35
	v_mul_f32_e32 v38, v29, v67
	v_lshl_add_u64 v[60:61], v[22:23], 3, s[14:15]
	s_waitcnt vmcnt(13)
	v_mul_f32_e32 v23, v54, v71
	v_mul_f32_e32 v33, v31, v67
	v_fmac_f32_e32 v38, v66, v31
	v_fma_f32 v31, v70, v42, -v23
	v_fma_f32 v36, v66, v29, -v33
	s_waitcnt vmcnt(11)
	v_mul_f32_e32 v23, v72, v75
	v_mov_b32_e32 v29, v7
	v_mul_f32_e32 v7, v73, v75
	v_fmac_f32_e32 v23, v73, v74
	v_fma_f32 v7, v72, v74, -v7
	s_waitcnt vmcnt(8)
	v_mul_f32_e32 v34, v78, v80
	v_mul_f32_e32 v33, v42, v71
	v_lshl_add_u64 v[62:63], v[28:29], 3, s[14:15]
	s_waitcnt vmcnt(7)
	v_mul_f32_e32 v39, v23, v83
	v_add_u32_e32 v29, 0x1800, v49
	v_fma_f32 v37, -v79, v81, v34
	v_pk_mul_f32 v[34:35], v[78:79], v[80:81] op_sel:[1,0] op_sel_hi:[0,1]
	v_fma_f32 v39, v82, v7, -v39
	v_mul_f32_e32 v7, v7, v83
	v_fmac_f32_e32 v33, v70, v54
	v_fmac_f32_e32 v7, v82, v23
	ds_read2_b64 v[52:55], v29 offset0:96 offset1:240
	v_add_f32_e32 v23, v34, v35
	ds_read_b64 v[68:69], v51
	ds_read_b64 v[34:35], v50
	;; [unrolled: 1-line block ×4, first 2 shown]
	global_load_dwordx2 v[62:63], v[62:63], off offset:848
	v_mul_f32_e32 v64, v37, v77
	v_fmac_f32_e32 v64, v76, v23
	v_mul_f32_e32 v23, v23, v77
	v_add_u32_e32 v11, 0x2400, v49
	v_fma_f32 v66, v76, v37, -v23
	s_waitcnt vmcnt(3)
	v_pk_mul_f32 v[70:71], v[90:91], v[92:93] op_sel:[1,0] op_sel_hi:[0,1]
	v_mul_f32_e32 v29, v84, v87
	v_mul_f32_e32 v37, v90, v92
	v_add_f32_e32 v49, v70, v71
	v_mad_u64_u32 v[74:75], s[0:1], s12, v47, 0
	v_mul_f32_e32 v23, v85, v87
	v_fmac_f32_e32 v29, v85, v86
	v_fma_f32 v37, -v91, v93, v37
	v_mul_f32_e32 v57, v49, v89
	v_mov_b32_e32 v76, v75
	v_fma_f32 v23, v84, v86, -v23
	v_fma_f32 v70, v88, v37, -v57
	v_mul_f32_e32 v72, v37, v89
	s_waitcnt vmcnt(2)
	v_mul_f32_e32 v37, v29, v95
	v_mad_u64_u32 v[76:77], s[0:1], s13, v47, v[76:77]
	v_fma_f32 v37, v94, v23, -v37
	v_mul_f32_e32 v23, v23, v95
	s_movk_i32 s0, 0x35f
	v_fmac_f32_e32 v23, v94, v29
	v_mov_b32_e32 v29, 0xd8
	v_cmp_lt_u32_e32 vcc, s0, v0
	v_mov_b32_e32 v75, v76
	global_load_dwordx2 v[40:41], v[40:41], off offset:848
	v_cndmask_b32_e32 v0, 0, v29, vcc
	global_load_dwordx2 v[20:21], v[20:21], off offset:848
	v_add_u32_e32 v29, v56, v0
	v_mad_u64_u32 v[56:57], s[0:1], s8, v29, 0
	v_mov_b32_e32 v0, v57
	v_mad_u64_u32 v[76:77], s[0:1], s9, v29, v[0:1]
	v_mov_b32_e32 v57, v76
	v_add_u32_e32 v29, 0x6c, v29
	v_fmac_f32_e32 v72, v88, v49
	s_waitcnt vmcnt(3) lgkmcnt(4)
	v_pk_mul_f32 v[76:77], v[58:59], v[52:53] op_sel:[1,1] op_sel_hi:[0,1]
	v_pk_fma_f32 v[78:79], v[58:59], v[52:53], v[76:77] neg_lo:[0,0,1] neg_hi:[0,0,1]
	v_pk_fma_f32 v[52:53], v[58:59], v[52:53], v[76:77] op_sel_hi:[1,0,1]
	global_load_dwordx2 v[58:59], v[60:61], off offset:848
	v_mov_b32_e32 v79, v53
	v_mad_u64_u32 v[60:61], s[0:1], s8, v29, 0
	s_waitcnt lgkmcnt(0)
	v_pk_add_f32 v[52:53], v[50:51], v[78:79] neg_lo:[0,1] neg_hi:[0,1]
	v_mov_b32_e32 v0, v61
	v_pk_mul_f32 v[72:73], v[52:53], v[72:73] op_sel_hi:[1,0]
	s_nop 0
	v_pk_fma_f32 v[76:77], v[52:53], v[70:71], v[72:73] op_sel:[0,0,1] op_sel_hi:[1,1,0] neg_lo:[0,0,1] neg_hi:[0,0,1]
	v_pk_fma_f32 v[70:71], v[52:53], v[70:71], v[72:73] op_sel:[0,0,1] op_sel_hi:[1,0,0]
	v_mad_u64_u32 v[72:73], s[0:1], s9, v29, v[0:1]
	v_fma_f32 v29, v50, 2.0, -v52
	v_fma_f32 v0, v51, 2.0, -v53
	v_mul_f32_e32 v73, v29, v23
	s_lshl_b64 s[0:1], s[6:7], 3
	v_fmac_f32_e32 v73, v0, v37
	v_mul_f32_e32 v0, v0, v23
	s_add_u32 s0, s10, s0
	v_mov_b32_e32 v61, v72
	v_fma_f32 v72, v29, v37, -v0
	v_sub_u32_e32 v0, v48, v28
	ds_read2_b64 v[50:53], v11 offset1:144
	s_addc_u32 s1, s11, s1
	v_add_u32_e32 v11, v0, v48
	v_lshl_add_u64 v[74:75], v[74:75], 3, s[0:1]
	v_mad_u64_u32 v[28:29], s[0:1], s8, v11, 0
	v_mov_b32_e32 v0, v29
	v_mad_u64_u32 v[48:49], s[0:1], s9, v11, v[0:1]
	v_add_u32_e32 v11, 0x6c, v11
	v_mov_b32_e32 v29, v48
	v_mad_u64_u32 v[48:49], s[0:1], s8, v11, 0
	v_lshl_add_u64 v[56:57], v[56:57], 3, v[74:75]
	v_mov_b32_e32 v0, v49
	global_store_dwordx2 v[56:57], v[72:73], off
	v_mad_u64_u32 v[56:57], s[0:1], s9, v11, v[0:1]
	v_lshl_add_u64 v[60:61], v[60:61], 3, v[74:75]
	v_mov_b32_e32 v77, v71
	v_mov_b32_e32 v49, v56
	s_waitcnt vmcnt(4)
	v_pk_mul_f32 v[56:57], v[62:63], v[54:55] op_sel:[1,1] op_sel_hi:[0,1]
	global_store_dwordx2 v[60:61], v[76:77], off
	v_pk_fma_f32 v[60:61], v[62:63], v[54:55], v[56:57] neg_lo:[0,0,1] neg_hi:[0,0,1]
	v_pk_fma_f32 v[54:55], v[62:63], v[54:55], v[56:57] op_sel_hi:[1,0,1]
	v_lshl_add_u64 v[28:29], v[28:29], 3, v[74:75]
	v_mov_b32_e32 v61, v55
	v_pk_add_f32 v[54:55], v[68:69], v[60:61] neg_lo:[0,1] neg_hi:[0,1]
	v_lshl_add_u64 v[48:49], v[48:49], 3, v[74:75]
	v_pk_mul_f32 v[56:57], v[54:55], v[64:65] op_sel_hi:[1,0]
	v_fma_f32 v11, v68, 2.0, -v54
	v_pk_fma_f32 v[60:61], v[54:55], v[66:67], v[56:57] op_sel:[0,0,1] op_sel_hi:[1,1,0] neg_lo:[0,0,1] neg_hi:[0,0,1]
	v_pk_fma_f32 v[56:57], v[54:55], v[66:67], v[56:57] op_sel:[0,0,1] op_sel_hi:[1,0,0]
	v_fma_f32 v0, v69, 2.0, -v55
	v_mul_f32_e32 v55, v11, v7
	v_fmac_f32_e32 v55, v0, v39
	v_mul_f32_e32 v0, v0, v7
	v_fma_f32 v54, v11, v39, -v0
	v_sub_u32_e32 v0, v46, v22
	v_add_u32_e32 v7, v0, v46
	v_mad_u64_u32 v[22:23], s[0:1], s8, v7, 0
	v_mov_b32_e32 v0, v23
	global_store_dwordx2 v[28:29], v[54:55], off
	v_mad_u64_u32 v[28:29], s[0:1], s9, v7, v[0:1]
	v_add_u32_e32 v7, 0x6c, v7
	v_mov_b32_e32 v23, v28
	v_mad_u64_u32 v[28:29], s[0:1], s8, v7, 0
	v_mov_b32_e32 v0, v29
	v_mad_u64_u32 v[46:47], s[0:1], s9, v7, v[0:1]
	v_mov_b32_e32 v61, v57
	v_mov_b32_e32 v29, v46
	global_store_dwordx2 v[48:49], v[60:61], off
	v_lshl_add_u64 v[22:23], v[22:23], 3, v[74:75]
	v_lshl_add_u64 v[28:29], v[28:29], 3, v[74:75]
	s_waitcnt vmcnt(4) lgkmcnt(0)
	v_pk_mul_f32 v[46:47], v[58:59], v[50:51] op_sel:[1,1] op_sel_hi:[0,1]
	v_pk_fma_f32 v[48:49], v[58:59], v[50:51], v[46:47] neg_lo:[0,0,1] neg_hi:[0,0,1]
	v_pk_fma_f32 v[46:47], v[58:59], v[50:51], v[46:47] op_sel_hi:[1,0,1]
	s_nop 0
	v_mov_b32_e32 v49, v47
	v_pk_add_f32 v[46:47], v[42:43], v[48:49] neg_lo:[0,1] neg_hi:[0,1]
	s_nop 0
	v_pk_mul_f32 v[38:39], v[46:47], v[38:39] op_sel_hi:[1,0]
	v_fma_f32 v7, v42, 2.0, -v46
	v_pk_fma_f32 v[48:49], v[46:47], v[36:37], v[38:39] op_sel:[0,0,1] op_sel_hi:[1,1,0] neg_lo:[0,0,1] neg_hi:[0,0,1]
	v_pk_fma_f32 v[36:37], v[46:47], v[36:37], v[38:39] op_sel:[0,0,1] op_sel_hi:[1,0,0]
	v_fma_f32 v0, v43, 2.0, -v47
	v_mul_f32_e32 v39, v7, v33
	v_fmac_f32_e32 v39, v0, v31
	v_mul_f32_e32 v0, v0, v33
	v_fma_f32 v38, v7, v31, -v0
	v_sub_u32_e32 v0, v1, v10
	v_add_u32_e32 v7, v0, v1
	v_mad_u64_u32 v[0:1], s[0:1], s8, v7, 0
	v_mov_b32_e32 v10, v1
	v_mad_u64_u32 v[10:11], s[0:1], s9, v7, v[10:11]
	v_add_u32_e32 v7, 0x6c, v7
	v_mov_b32_e32 v1, v10
	v_mad_u64_u32 v[10:11], s[0:1], s8, v7, 0
	global_store_dwordx2 v[22:23], v[38:39], off
	v_mov_b32_e32 v22, v11
	v_mad_u64_u32 v[22:23], s[0:1], s9, v7, v[22:23]
	v_mov_b32_e32 v49, v37
	v_mov_b32_e32 v11, v22
	v_pk_mul_f32 v[22:23], v[40:41], v[52:53] op_sel:[1,1] op_sel_hi:[0,1]
	global_store_dwordx2 v[28:29], v[48:49], off
	v_pk_fma_f32 v[28:29], v[40:41], v[52:53], v[22:23] neg_lo:[0,0,1] neg_hi:[0,0,1]
	v_pk_fma_f32 v[22:23], v[40:41], v[52:53], v[22:23] op_sel_hi:[1,0,1]
	v_lshl_add_u64 v[0:1], v[0:1], 3, v[74:75]
	v_mov_b32_e32 v29, v23
	v_pk_add_f32 v[22:23], v[26:27], v[28:29] neg_lo:[0,1] neg_hi:[0,1]
	v_lshl_add_u64 v[10:11], v[10:11], 3, v[74:75]
	v_pk_mul_f32 v[28:29], v[22:23], v[30:31] op_sel_hi:[1,0]
	v_fma_f32 v7, v27, 2.0, -v23
	v_pk_fma_f32 v[30:31], v[22:23], v[32:33], v[28:29] op_sel:[0,0,1] op_sel_hi:[1,1,0] neg_lo:[0,0,1] neg_hi:[0,0,1]
	v_pk_fma_f32 v[28:29], v[22:23], v[32:33], v[28:29] op_sel:[0,0,1] op_sel_hi:[1,0,0]
	v_fma_f32 v22, v26, 2.0, -v22
	v_mul_f32_e32 v23, v22, v65
	v_fmac_f32_e32 v23, v7, v97
	v_mul_f32_e32 v7, v7, v65
	v_fma_f32 v22, v22, v97, -v7
	global_store_dwordx2 v[0:1], v[22:23], off
	v_mov_b32_e32 v31, v29
	v_sub_u32_e32 v0, v45, v6
	global_store_dwordx2 v[10:11], v[30:31], off
	v_add_u32_e32 v10, v0, v45
	v_mad_u64_u32 v[0:1], s[0:1], s8, v10, 0
	v_mov_b32_e32 v6, v1
	v_mad_u64_u32 v[6:7], s[0:1], s9, v10, v[6:7]
	v_add_u32_e32 v11, 0x6c, v10
	v_mov_b32_e32 v1, v6
	v_mad_u64_u32 v[6:7], s[0:1], s8, v11, 0
	v_mov_b32_e32 v10, v7
	v_mad_u64_u32 v[10:11], s[0:1], s9, v11, v[10:11]
	v_mov_b32_e32 v7, v10
	v_pk_mul_f32 v[10:11], v[20:21], v[2:3] op_sel:[1,1] op_sel_hi:[0,1]
	v_pk_fma_f32 v[22:23], v[20:21], v[2:3], v[10:11] neg_lo:[0,0,1] neg_hi:[0,0,1]
	v_pk_fma_f32 v[2:3], v[20:21], v[2:3], v[10:11] op_sel_hi:[1,0,1]
	v_lshl_add_u64 v[0:1], v[0:1], 3, v[74:75]
	v_mov_b32_e32 v23, v3
	v_pk_add_f32 v[2:3], v[34:35], v[22:23] neg_lo:[0,1] neg_hi:[0,1]
	v_lshl_add_u64 v[6:7], v[6:7], 3, v[74:75]
	v_pk_mul_f32 v[10:11], v[2:3], v[18:19] op_sel_hi:[1,0]
	s_nop 0
	v_pk_fma_f32 v[20:21], v[2:3], v[24:25], v[10:11] op_sel:[0,0,1] op_sel_hi:[1,1,0] neg_lo:[0,0,1] neg_hi:[0,0,1]
	v_pk_fma_f32 v[10:11], v[2:3], v[24:25], v[10:11] op_sel:[0,0,1] op_sel_hi:[1,0,0]
	v_fma_f32 v2, v34, 2.0, -v2
	v_fma_f32 v10, v35, 2.0, -v3
	v_mul_f32_e32 v3, v2, v25
	v_fmac_f32_e32 v3, v10, v96
	v_mul_f32_e32 v10, v10, v25
	v_fma_f32 v2, v2, v96, -v10
	global_store_dwordx2 v[0:1], v[2:3], off
	v_mov_b32_e32 v21, v11
	v_sub_u32_e32 v0, v44, v15
	global_store_dwordx2 v[6:7], v[20:21], off
	v_add_u32_e32 v6, v0, v44
	v_mad_u64_u32 v[0:1], s[0:1], s8, v6, 0
	v_mov_b32_e32 v2, v1
	v_mad_u64_u32 v[2:3], s[0:1], s9, v6, v[2:3]
	v_add_u32_e32 v7, 0x6c, v6
	v_mov_b32_e32 v1, v2
	v_mad_u64_u32 v[2:3], s[0:1], s8, v7, 0
	v_mov_b32_e32 v6, v3
	v_mad_u64_u32 v[6:7], s[0:1], s9, v7, v[6:7]
	v_mov_b32_e32 v3, v6
	v_pk_mul_f32 v[6:7], v[4:5], v[12:13] op_sel:[0,1]
	v_lshl_add_u64 v[0:1], v[0:1], 3, v[74:75]
	v_pk_fma_f32 v[10:11], v[4:5], v[12:13], v[6:7] op_sel:[0,0,1] op_sel_hi:[1,1,0] neg_lo:[0,0,1] neg_hi:[0,0,1]
	v_pk_fma_f32 v[4:5], v[4:5], v[12:13], v[6:7] op_sel:[0,0,1] op_sel_hi:[1,0,0]
	v_lshl_add_u64 v[2:3], v[2:3], 3, v[74:75]
	v_mov_b32_e32 v11, v5
	v_pk_add_f32 v[4:5], v[8:9], v[10:11] neg_lo:[0,1] neg_hi:[0,1]
	s_nop 0
	v_pk_mul_f32 v[6:7], v[4:5], v[16:17] op_sel_hi:[1,0]
	s_nop 0
	v_pk_fma_f32 v[10:11], v[4:5], v[14:15], v[6:7] op_sel:[0,0,1] op_sel_hi:[1,1,0] neg_lo:[0,0,1] neg_hi:[0,0,1]
	v_pk_fma_f32 v[6:7], v[4:5], v[14:15], v[6:7] op_sel:[0,0,1] op_sel_hi:[1,0,0]
	v_fma_f32 v4, v8, 2.0, -v4
	v_fma_f32 v6, v9, 2.0, -v5
	v_mul_f32_e32 v5, v4, v17
	v_fmac_f32_e32 v5, v6, v19
	v_mul_f32_e32 v6, v6, v17
	v_fma_f32 v4, v4, v19, -v6
	v_mov_b32_e32 v11, v7
	global_store_dwordx2 v[0:1], v[4:5], off
	global_store_dwordx2 v[2:3], v[10:11], off
.LBB0_20:
	s_endpgm
	.section	.rodata,"a",@progbits
	.p2align	6, 0x0
	.amdhsa_kernel fft_rtc_fwd_len216_factors_2_6_9_2_wgs_144_tpt_18_dim3_sp_ip_CI_sbcc_twdbase8_3step_dirReg
		.amdhsa_group_segment_fixed_size 0
		.amdhsa_private_segment_fixed_size 0
		.amdhsa_kernarg_size 88
		.amdhsa_user_sgpr_count 2
		.amdhsa_user_sgpr_dispatch_ptr 0
		.amdhsa_user_sgpr_queue_ptr 0
		.amdhsa_user_sgpr_kernarg_segment_ptr 1
		.amdhsa_user_sgpr_dispatch_id 0
		.amdhsa_user_sgpr_kernarg_preload_length 0
		.amdhsa_user_sgpr_kernarg_preload_offset 0
		.amdhsa_user_sgpr_private_segment_size 0
		.amdhsa_uses_dynamic_stack 0
		.amdhsa_enable_private_segment 0
		.amdhsa_system_sgpr_workgroup_id_x 1
		.amdhsa_system_sgpr_workgroup_id_y 0
		.amdhsa_system_sgpr_workgroup_id_z 0
		.amdhsa_system_sgpr_workgroup_info 0
		.amdhsa_system_vgpr_workitem_id 0
		.amdhsa_next_free_vgpr 104
		.amdhsa_next_free_sgpr 36
		.amdhsa_accum_offset 104
		.amdhsa_reserve_vcc 1
		.amdhsa_float_round_mode_32 0
		.amdhsa_float_round_mode_16_64 0
		.amdhsa_float_denorm_mode_32 3
		.amdhsa_float_denorm_mode_16_64 3
		.amdhsa_dx10_clamp 1
		.amdhsa_ieee_mode 1
		.amdhsa_fp16_overflow 0
		.amdhsa_tg_split 0
		.amdhsa_exception_fp_ieee_invalid_op 0
		.amdhsa_exception_fp_denorm_src 0
		.amdhsa_exception_fp_ieee_div_zero 0
		.amdhsa_exception_fp_ieee_overflow 0
		.amdhsa_exception_fp_ieee_underflow 0
		.amdhsa_exception_fp_ieee_inexact 0
		.amdhsa_exception_int_div_zero 0
	.end_amdhsa_kernel
	.text
.Lfunc_end0:
	.size	fft_rtc_fwd_len216_factors_2_6_9_2_wgs_144_tpt_18_dim3_sp_ip_CI_sbcc_twdbase8_3step_dirReg, .Lfunc_end0-fft_rtc_fwd_len216_factors_2_6_9_2_wgs_144_tpt_18_dim3_sp_ip_CI_sbcc_twdbase8_3step_dirReg
                                        ; -- End function
	.section	.AMDGPU.csdata,"",@progbits
; Kernel info:
; codeLenInByte = 8988
; NumSgprs: 42
; NumVgprs: 104
; NumAgprs: 0
; TotalNumVgprs: 104
; ScratchSize: 0
; MemoryBound: 0
; FloatMode: 240
; IeeeMode: 1
; LDSByteSize: 0 bytes/workgroup (compile time only)
; SGPRBlocks: 5
; VGPRBlocks: 12
; NumSGPRsForWavesPerEU: 42
; NumVGPRsForWavesPerEU: 104
; AccumOffset: 104
; Occupancy: 4
; WaveLimiterHint : 1
; COMPUTE_PGM_RSRC2:SCRATCH_EN: 0
; COMPUTE_PGM_RSRC2:USER_SGPR: 2
; COMPUTE_PGM_RSRC2:TRAP_HANDLER: 0
; COMPUTE_PGM_RSRC2:TGID_X_EN: 1
; COMPUTE_PGM_RSRC2:TGID_Y_EN: 0
; COMPUTE_PGM_RSRC2:TGID_Z_EN: 0
; COMPUTE_PGM_RSRC2:TIDIG_COMP_CNT: 0
; COMPUTE_PGM_RSRC3_GFX90A:ACCUM_OFFSET: 25
; COMPUTE_PGM_RSRC3_GFX90A:TG_SPLIT: 0
	.text
	.p2alignl 6, 3212836864
	.fill 256, 4, 3212836864
	.type	__hip_cuid_3ce0138ae4c121c6,@object ; @__hip_cuid_3ce0138ae4c121c6
	.section	.bss,"aw",@nobits
	.globl	__hip_cuid_3ce0138ae4c121c6
__hip_cuid_3ce0138ae4c121c6:
	.byte	0                               ; 0x0
	.size	__hip_cuid_3ce0138ae4c121c6, 1

	.ident	"AMD clang version 19.0.0git (https://github.com/RadeonOpenCompute/llvm-project roc-6.4.0 25133 c7fe45cf4b819c5991fe208aaa96edf142730f1d)"
	.section	".note.GNU-stack","",@progbits
	.addrsig
	.addrsig_sym __hip_cuid_3ce0138ae4c121c6
	.amdgpu_metadata
---
amdhsa.kernels:
  - .agpr_count:     0
    .args:
      - .actual_access:  read_only
        .address_space:  global
        .offset:         0
        .size:           8
        .value_kind:     global_buffer
      - .address_space:  global
        .offset:         8
        .size:           8
        .value_kind:     global_buffer
      - .actual_access:  read_only
        .address_space:  global
        .offset:         16
        .size:           8
        .value_kind:     global_buffer
      - .actual_access:  read_only
        .address_space:  global
        .offset:         24
        .size:           8
        .value_kind:     global_buffer
      - .offset:         32
        .size:           8
        .value_kind:     by_value
      - .actual_access:  read_only
        .address_space:  global
        .offset:         40
        .size:           8
        .value_kind:     global_buffer
      - .actual_access:  read_only
        .address_space:  global
        .offset:         48
        .size:           8
        .value_kind:     global_buffer
      - .offset:         56
        .size:           4
        .value_kind:     by_value
      - .actual_access:  read_only
        .address_space:  global
        .offset:         64
        .size:           8
        .value_kind:     global_buffer
      - .actual_access:  read_only
        .address_space:  global
        .offset:         72
        .size:           8
        .value_kind:     global_buffer
      - .address_space:  global
        .offset:         80
        .size:           8
        .value_kind:     global_buffer
    .group_segment_fixed_size: 0
    .kernarg_segment_align: 8
    .kernarg_segment_size: 88
    .language:       OpenCL C
    .language_version:
      - 2
      - 0
    .max_flat_workgroup_size: 144
    .name:           fft_rtc_fwd_len216_factors_2_6_9_2_wgs_144_tpt_18_dim3_sp_ip_CI_sbcc_twdbase8_3step_dirReg
    .private_segment_fixed_size: 0
    .sgpr_count:     42
    .sgpr_spill_count: 0
    .symbol:         fft_rtc_fwd_len216_factors_2_6_9_2_wgs_144_tpt_18_dim3_sp_ip_CI_sbcc_twdbase8_3step_dirReg.kd
    .uniform_work_group_size: 1
    .uses_dynamic_stack: false
    .vgpr_count:     104
    .vgpr_spill_count: 0
    .wavefront_size: 64
amdhsa.target:   amdgcn-amd-amdhsa--gfx950
amdhsa.version:
  - 1
  - 2
...

	.end_amdgpu_metadata
